;; amdgpu-corpus repo=ROCm/rocFFT kind=compiled arch=gfx1100 opt=O3
	.text
	.amdgcn_target "amdgcn-amd-amdhsa--gfx1100"
	.amdhsa_code_object_version 6
	.protected	fft_rtc_fwd_len1820_factors_10_13_7_2_wgs_182_tpt_182_halfLds_dp_op_CI_CI_unitstride_sbrr_R2C_dirReg ; -- Begin function fft_rtc_fwd_len1820_factors_10_13_7_2_wgs_182_tpt_182_halfLds_dp_op_CI_CI_unitstride_sbrr_R2C_dirReg
	.globl	fft_rtc_fwd_len1820_factors_10_13_7_2_wgs_182_tpt_182_halfLds_dp_op_CI_CI_unitstride_sbrr_R2C_dirReg
	.p2align	8
	.type	fft_rtc_fwd_len1820_factors_10_13_7_2_wgs_182_tpt_182_halfLds_dp_op_CI_CI_unitstride_sbrr_R2C_dirReg,@function
fft_rtc_fwd_len1820_factors_10_13_7_2_wgs_182_tpt_182_halfLds_dp_op_CI_CI_unitstride_sbrr_R2C_dirReg: ; @fft_rtc_fwd_len1820_factors_10_13_7_2_wgs_182_tpt_182_halfLds_dp_op_CI_CI_unitstride_sbrr_R2C_dirReg
; %bb.0:
	s_clause 0x2
	s_load_b128 s[8:11], s[0:1], 0x0
	s_load_b128 s[4:7], s[0:1], 0x58
	;; [unrolled: 1-line block ×3, first 2 shown]
	v_mul_u32_u24_e32 v1, 0x169, v0
	v_mov_b32_e32 v3, 0
	s_delay_alu instid0(VALU_DEP_2) | instskip(NEXT) | instid1(VALU_DEP_1)
	v_lshrrev_b32_e32 v1, 16, v1
	v_add_nc_u32_e32 v5, s15, v1
	v_mov_b32_e32 v1, 0
	v_mov_b32_e32 v2, 0
	;; [unrolled: 1-line block ×3, first 2 shown]
	s_waitcnt lgkmcnt(0)
	v_cmp_lt_u64_e64 s2, s[10:11], 2
	s_delay_alu instid0(VALU_DEP_1)
	s_and_b32 vcc_lo, exec_lo, s2
	s_cbranch_vccnz .LBB0_8
; %bb.1:
	s_load_b64 s[2:3], s[0:1], 0x10
	v_mov_b32_e32 v1, 0
	v_mov_b32_e32 v2, 0
	s_add_u32 s12, s18, 8
	s_addc_u32 s13, s19, 0
	s_add_u32 s14, s16, 8
	s_addc_u32 s15, s17, 0
	v_dual_mov_b32 v69, v2 :: v_dual_mov_b32 v68, v1
	s_mov_b64 s[22:23], 1
	s_waitcnt lgkmcnt(0)
	s_add_u32 s20, s2, 8
	s_addc_u32 s21, s3, 0
.LBB0_2:                                ; =>This Inner Loop Header: Depth=1
	s_load_b64 s[24:25], s[20:21], 0x0
                                        ; implicit-def: $vgpr72_vgpr73
	s_mov_b32 s2, exec_lo
	s_waitcnt lgkmcnt(0)
	v_or_b32_e32 v4, s25, v6
	s_delay_alu instid0(VALU_DEP_1)
	v_cmpx_ne_u64_e32 0, v[3:4]
	s_xor_b32 s3, exec_lo, s2
	s_cbranch_execz .LBB0_4
; %bb.3:                                ;   in Loop: Header=BB0_2 Depth=1
	v_cvt_f32_u32_e32 v4, s24
	v_cvt_f32_u32_e32 v7, s25
	s_sub_u32 s2, 0, s24
	s_subb_u32 s26, 0, s25
	s_delay_alu instid0(VALU_DEP_1) | instskip(NEXT) | instid1(VALU_DEP_1)
	v_fmac_f32_e32 v4, 0x4f800000, v7
	v_rcp_f32_e32 v4, v4
	s_waitcnt_depctr 0xfff
	v_mul_f32_e32 v4, 0x5f7ffffc, v4
	s_delay_alu instid0(VALU_DEP_1) | instskip(NEXT) | instid1(VALU_DEP_1)
	v_mul_f32_e32 v7, 0x2f800000, v4
	v_trunc_f32_e32 v7, v7
	s_delay_alu instid0(VALU_DEP_1) | instskip(SKIP_1) | instid1(VALU_DEP_2)
	v_fmac_f32_e32 v4, 0xcf800000, v7
	v_cvt_u32_f32_e32 v7, v7
	v_cvt_u32_f32_e32 v4, v4
	s_delay_alu instid0(VALU_DEP_2) | instskip(NEXT) | instid1(VALU_DEP_2)
	v_mul_lo_u32 v8, s2, v7
	v_mul_hi_u32 v9, s2, v4
	v_mul_lo_u32 v10, s26, v4
	s_delay_alu instid0(VALU_DEP_2) | instskip(SKIP_1) | instid1(VALU_DEP_2)
	v_add_nc_u32_e32 v8, v9, v8
	v_mul_lo_u32 v9, s2, v4
	v_add_nc_u32_e32 v8, v8, v10
	s_delay_alu instid0(VALU_DEP_2) | instskip(NEXT) | instid1(VALU_DEP_2)
	v_mul_hi_u32 v10, v4, v9
	v_mul_lo_u32 v11, v4, v8
	v_mul_hi_u32 v12, v4, v8
	v_mul_hi_u32 v13, v7, v9
	v_mul_lo_u32 v9, v7, v9
	v_mul_hi_u32 v14, v7, v8
	v_mul_lo_u32 v8, v7, v8
	v_add_co_u32 v10, vcc_lo, v10, v11
	v_add_co_ci_u32_e32 v11, vcc_lo, 0, v12, vcc_lo
	s_delay_alu instid0(VALU_DEP_2) | instskip(NEXT) | instid1(VALU_DEP_2)
	v_add_co_u32 v9, vcc_lo, v10, v9
	v_add_co_ci_u32_e32 v9, vcc_lo, v11, v13, vcc_lo
	v_add_co_ci_u32_e32 v10, vcc_lo, 0, v14, vcc_lo
	s_delay_alu instid0(VALU_DEP_2) | instskip(NEXT) | instid1(VALU_DEP_2)
	v_add_co_u32 v8, vcc_lo, v9, v8
	v_add_co_ci_u32_e32 v9, vcc_lo, 0, v10, vcc_lo
	s_delay_alu instid0(VALU_DEP_2) | instskip(NEXT) | instid1(VALU_DEP_2)
	v_add_co_u32 v4, vcc_lo, v4, v8
	v_add_co_ci_u32_e32 v7, vcc_lo, v7, v9, vcc_lo
	s_delay_alu instid0(VALU_DEP_2) | instskip(SKIP_1) | instid1(VALU_DEP_3)
	v_mul_hi_u32 v8, s2, v4
	v_mul_lo_u32 v10, s26, v4
	v_mul_lo_u32 v9, s2, v7
	s_delay_alu instid0(VALU_DEP_1) | instskip(SKIP_1) | instid1(VALU_DEP_2)
	v_add_nc_u32_e32 v8, v8, v9
	v_mul_lo_u32 v9, s2, v4
	v_add_nc_u32_e32 v8, v8, v10
	s_delay_alu instid0(VALU_DEP_2) | instskip(NEXT) | instid1(VALU_DEP_2)
	v_mul_hi_u32 v10, v4, v9
	v_mul_lo_u32 v11, v4, v8
	v_mul_hi_u32 v12, v4, v8
	v_mul_hi_u32 v13, v7, v9
	v_mul_lo_u32 v9, v7, v9
	v_mul_hi_u32 v14, v7, v8
	v_mul_lo_u32 v8, v7, v8
	v_add_co_u32 v10, vcc_lo, v10, v11
	v_add_co_ci_u32_e32 v11, vcc_lo, 0, v12, vcc_lo
	s_delay_alu instid0(VALU_DEP_2) | instskip(NEXT) | instid1(VALU_DEP_2)
	v_add_co_u32 v9, vcc_lo, v10, v9
	v_add_co_ci_u32_e32 v9, vcc_lo, v11, v13, vcc_lo
	v_add_co_ci_u32_e32 v10, vcc_lo, 0, v14, vcc_lo
	s_delay_alu instid0(VALU_DEP_2) | instskip(NEXT) | instid1(VALU_DEP_2)
	v_add_co_u32 v8, vcc_lo, v9, v8
	v_add_co_ci_u32_e32 v9, vcc_lo, 0, v10, vcc_lo
	s_delay_alu instid0(VALU_DEP_2) | instskip(NEXT) | instid1(VALU_DEP_2)
	v_add_co_u32 v4, vcc_lo, v4, v8
	v_add_co_ci_u32_e32 v13, vcc_lo, v7, v9, vcc_lo
	s_delay_alu instid0(VALU_DEP_2) | instskip(SKIP_1) | instid1(VALU_DEP_3)
	v_mul_hi_u32 v14, v5, v4
	v_mad_u64_u32 v[9:10], null, v6, v4, 0
	v_mad_u64_u32 v[7:8], null, v5, v13, 0
	;; [unrolled: 1-line block ×3, first 2 shown]
	s_delay_alu instid0(VALU_DEP_2) | instskip(NEXT) | instid1(VALU_DEP_3)
	v_add_co_u32 v4, vcc_lo, v14, v7
	v_add_co_ci_u32_e32 v7, vcc_lo, 0, v8, vcc_lo
	s_delay_alu instid0(VALU_DEP_2) | instskip(NEXT) | instid1(VALU_DEP_2)
	v_add_co_u32 v4, vcc_lo, v4, v9
	v_add_co_ci_u32_e32 v4, vcc_lo, v7, v10, vcc_lo
	v_add_co_ci_u32_e32 v7, vcc_lo, 0, v12, vcc_lo
	s_delay_alu instid0(VALU_DEP_2) | instskip(NEXT) | instid1(VALU_DEP_2)
	v_add_co_u32 v4, vcc_lo, v4, v11
	v_add_co_ci_u32_e32 v9, vcc_lo, 0, v7, vcc_lo
	s_delay_alu instid0(VALU_DEP_2) | instskip(SKIP_1) | instid1(VALU_DEP_3)
	v_mul_lo_u32 v10, s25, v4
	v_mad_u64_u32 v[7:8], null, s24, v4, 0
	v_mul_lo_u32 v11, s24, v9
	s_delay_alu instid0(VALU_DEP_2) | instskip(NEXT) | instid1(VALU_DEP_2)
	v_sub_co_u32 v7, vcc_lo, v5, v7
	v_add3_u32 v8, v8, v11, v10
	s_delay_alu instid0(VALU_DEP_1) | instskip(NEXT) | instid1(VALU_DEP_1)
	v_sub_nc_u32_e32 v10, v6, v8
	v_subrev_co_ci_u32_e64 v10, s2, s25, v10, vcc_lo
	v_add_co_u32 v11, s2, v4, 2
	s_delay_alu instid0(VALU_DEP_1) | instskip(SKIP_3) | instid1(VALU_DEP_3)
	v_add_co_ci_u32_e64 v12, s2, 0, v9, s2
	v_sub_co_u32 v13, s2, v7, s24
	v_sub_co_ci_u32_e32 v8, vcc_lo, v6, v8, vcc_lo
	v_subrev_co_ci_u32_e64 v10, s2, 0, v10, s2
	v_cmp_le_u32_e32 vcc_lo, s24, v13
	s_delay_alu instid0(VALU_DEP_3) | instskip(SKIP_1) | instid1(VALU_DEP_4)
	v_cmp_eq_u32_e64 s2, s25, v8
	v_cndmask_b32_e64 v13, 0, -1, vcc_lo
	v_cmp_le_u32_e32 vcc_lo, s25, v10
	v_cndmask_b32_e64 v14, 0, -1, vcc_lo
	v_cmp_le_u32_e32 vcc_lo, s24, v7
	;; [unrolled: 2-line block ×3, first 2 shown]
	v_cndmask_b32_e64 v15, 0, -1, vcc_lo
	v_cmp_eq_u32_e32 vcc_lo, s25, v10
	s_delay_alu instid0(VALU_DEP_2) | instskip(SKIP_3) | instid1(VALU_DEP_3)
	v_cndmask_b32_e64 v7, v15, v7, s2
	v_cndmask_b32_e32 v10, v14, v13, vcc_lo
	v_add_co_u32 v13, vcc_lo, v4, 1
	v_add_co_ci_u32_e32 v14, vcc_lo, 0, v9, vcc_lo
	v_cmp_ne_u32_e32 vcc_lo, 0, v10
	s_delay_alu instid0(VALU_DEP_2) | instskip(NEXT) | instid1(VALU_DEP_4)
	v_cndmask_b32_e32 v8, v14, v12, vcc_lo
	v_cndmask_b32_e32 v10, v13, v11, vcc_lo
	v_cmp_ne_u32_e32 vcc_lo, 0, v7
	s_delay_alu instid0(VALU_DEP_2)
	v_dual_cndmask_b32 v73, v9, v8 :: v_dual_cndmask_b32 v72, v4, v10
.LBB0_4:                                ;   in Loop: Header=BB0_2 Depth=1
	s_and_not1_saveexec_b32 s2, s3
	s_cbranch_execz .LBB0_6
; %bb.5:                                ;   in Loop: Header=BB0_2 Depth=1
	v_cvt_f32_u32_e32 v4, s24
	s_sub_i32 s3, 0, s24
	v_mov_b32_e32 v73, v3
	s_delay_alu instid0(VALU_DEP_2) | instskip(SKIP_2) | instid1(VALU_DEP_1)
	v_rcp_iflag_f32_e32 v4, v4
	s_waitcnt_depctr 0xfff
	v_mul_f32_e32 v4, 0x4f7ffffe, v4
	v_cvt_u32_f32_e32 v4, v4
	s_delay_alu instid0(VALU_DEP_1) | instskip(NEXT) | instid1(VALU_DEP_1)
	v_mul_lo_u32 v7, s3, v4
	v_mul_hi_u32 v7, v4, v7
	s_delay_alu instid0(VALU_DEP_1) | instskip(NEXT) | instid1(VALU_DEP_1)
	v_add_nc_u32_e32 v4, v4, v7
	v_mul_hi_u32 v4, v5, v4
	s_delay_alu instid0(VALU_DEP_1) | instskip(SKIP_1) | instid1(VALU_DEP_2)
	v_mul_lo_u32 v7, v4, s24
	v_add_nc_u32_e32 v8, 1, v4
	v_sub_nc_u32_e32 v7, v5, v7
	s_delay_alu instid0(VALU_DEP_1) | instskip(SKIP_1) | instid1(VALU_DEP_2)
	v_subrev_nc_u32_e32 v9, s24, v7
	v_cmp_le_u32_e32 vcc_lo, s24, v7
	v_dual_cndmask_b32 v7, v7, v9 :: v_dual_cndmask_b32 v4, v4, v8
	s_delay_alu instid0(VALU_DEP_1) | instskip(NEXT) | instid1(VALU_DEP_2)
	v_cmp_le_u32_e32 vcc_lo, s24, v7
	v_add_nc_u32_e32 v8, 1, v4
	s_delay_alu instid0(VALU_DEP_1)
	v_cndmask_b32_e32 v72, v4, v8, vcc_lo
.LBB0_6:                                ;   in Loop: Header=BB0_2 Depth=1
	s_or_b32 exec_lo, exec_lo, s2
	s_delay_alu instid0(VALU_DEP_1) | instskip(NEXT) | instid1(VALU_DEP_2)
	v_mul_lo_u32 v4, v73, s24
	v_mul_lo_u32 v9, v72, s25
	s_load_b64 s[2:3], s[14:15], 0x0
	v_mad_u64_u32 v[7:8], null, v72, s24, 0
	s_load_b64 s[24:25], s[12:13], 0x0
	s_add_u32 s22, s22, 1
	s_addc_u32 s23, s23, 0
	s_add_u32 s12, s12, 8
	s_addc_u32 s13, s13, 0
	s_add_u32 s14, s14, 8
	s_delay_alu instid0(VALU_DEP_1) | instskip(SKIP_3) | instid1(VALU_DEP_2)
	v_add3_u32 v4, v8, v9, v4
	v_sub_co_u32 v8, vcc_lo, v5, v7
	s_addc_u32 s15, s15, 0
	s_add_u32 s20, s20, 8
	v_sub_co_ci_u32_e32 v6, vcc_lo, v6, v4, vcc_lo
	s_addc_u32 s21, s21, 0
	s_waitcnt lgkmcnt(0)
	s_delay_alu instid0(VALU_DEP_1)
	v_mul_lo_u32 v9, s2, v6
	v_mul_lo_u32 v10, s3, v8
	v_mad_u64_u32 v[4:5], null, s2, v8, v[1:2]
	v_mul_lo_u32 v11, s24, v6
	v_mul_lo_u32 v12, s25, v8
	v_mad_u64_u32 v[6:7], null, s24, v8, v[68:69]
	v_cmp_ge_u64_e64 s2, s[22:23], s[10:11]
	v_add3_u32 v2, v10, v5, v9
	s_delay_alu instid0(VALU_DEP_3) | instskip(NEXT) | instid1(VALU_DEP_4)
	v_dual_mov_b32 v1, v4 :: v_dual_mov_b32 v68, v6
	v_add3_u32 v69, v12, v7, v11
	s_delay_alu instid0(VALU_DEP_4)
	s_and_b32 vcc_lo, exec_lo, s2
	s_cbranch_vccnz .LBB0_9
; %bb.7:                                ;   in Loop: Header=BB0_2 Depth=1
	v_dual_mov_b32 v5, v72 :: v_dual_mov_b32 v6, v73
	s_branch .LBB0_2
.LBB0_8:
	v_dual_mov_b32 v69, v2 :: v_dual_mov_b32 v68, v1
	v_dual_mov_b32 v73, v6 :: v_dual_mov_b32 v72, v5
.LBB0_9:
	s_load_b64 s[0:1], s[0:1], 0x28
	v_mul_hi_u32 v3, 0x1681682, v0
	s_lshl_b64 s[10:11], s[10:11], 3
                                        ; implicit-def: $vgpr70
	s_delay_alu instid0(SALU_CYCLE_1) | instskip(SKIP_4) | instid1(VALU_DEP_1)
	s_add_u32 s2, s18, s10
	s_addc_u32 s3, s19, s11
	s_waitcnt lgkmcnt(0)
	v_cmp_gt_u64_e32 vcc_lo, s[0:1], v[72:73]
	v_cmp_le_u64_e64 s0, s[0:1], v[72:73]
	s_and_saveexec_b32 s1, s0
	s_delay_alu instid0(SALU_CYCLE_1)
	s_xor_b32 s0, exec_lo, s1
; %bb.10:
	v_mul_u32_u24_e32 v1, 0xb6, v3
                                        ; implicit-def: $vgpr3
	s_delay_alu instid0(VALU_DEP_1)
	v_sub_nc_u32_e32 v70, v0, v1
                                        ; implicit-def: $vgpr0
                                        ; implicit-def: $vgpr1_vgpr2
; %bb.11:
	s_and_not1_saveexec_b32 s1, s0
	s_cbranch_execz .LBB0_13
; %bb.12:
	s_add_u32 s10, s16, s10
	s_addc_u32 s11, s17, s11
	v_lshlrev_b64 v[1:2], 4, v[1:2]
	s_load_b64 s[10:11], s[10:11], 0x0
	s_waitcnt lgkmcnt(0)
	v_mul_lo_u32 v6, s11, v72
	v_mul_lo_u32 v7, s10, v73
	v_mad_u64_u32 v[4:5], null, s10, v72, 0
	s_delay_alu instid0(VALU_DEP_1) | instskip(SKIP_1) | instid1(VALU_DEP_2)
	v_add3_u32 v5, v5, v7, v6
	v_mul_u32_u24_e32 v6, 0xb6, v3
	v_lshlrev_b64 v[3:4], 4, v[4:5]
	s_delay_alu instid0(VALU_DEP_2) | instskip(NEXT) | instid1(VALU_DEP_1)
	v_sub_nc_u32_e32 v70, v0, v6
	v_lshlrev_b32_e32 v40, 4, v70
	s_delay_alu instid0(VALU_DEP_3) | instskip(NEXT) | instid1(VALU_DEP_1)
	v_add_co_u32 v0, s0, s4, v3
	v_add_co_ci_u32_e64 v3, s0, s5, v4, s0
	s_delay_alu instid0(VALU_DEP_2) | instskip(NEXT) | instid1(VALU_DEP_1)
	v_add_co_u32 v0, s0, v0, v1
	v_add_co_ci_u32_e64 v1, s0, v3, v2, s0
	s_delay_alu instid0(VALU_DEP_2) | instskip(NEXT) | instid1(VALU_DEP_1)
	v_add_co_u32 v8, s0, v0, v40
	v_add_co_ci_u32_e64 v9, s0, 0, v1, s0
	s_clause 0x1
	global_load_b128 v[0:3], v[8:9], off
	global_load_b128 v[4:7], v[8:9], off offset:2912
	v_add_co_u32 v10, s0, 0x1000, v8
	s_delay_alu instid0(VALU_DEP_1) | instskip(SKIP_1) | instid1(VALU_DEP_1)
	v_add_co_ci_u32_e64 v11, s0, 0, v9, s0
	v_add_co_u32 v16, s0, 0x2000, v8
	v_add_co_ci_u32_e64 v17, s0, 0, v9, s0
	v_add_co_u32 v20, s0, 0x3000, v8
	s_delay_alu instid0(VALU_DEP_1) | instskip(SKIP_1) | instid1(VALU_DEP_1)
	v_add_co_ci_u32_e64 v21, s0, 0, v9, s0
	v_add_co_u32 v28, s0, 0x4000, v8
	v_add_co_ci_u32_e64 v29, s0, 0, v9, s0
	;; [unrolled: 5-line block ×3, first 2 shown]
	s_clause 0x7
	global_load_b128 v[8:11], v[10:11], off offset:1728
	global_load_b128 v[12:15], v[16:17], off offset:544
	global_load_b128 v[16:19], v[16:17], off offset:3456
	global_load_b128 v[20:23], v[20:21], off offset:2272
	global_load_b128 v[24:27], v[28:29], off offset:1088
	global_load_b128 v[28:31], v[28:29], off offset:4000
	global_load_b128 v[32:35], v[32:33], off offset:2816
	global_load_b128 v[36:39], v[36:37], off offset:1632
	v_add_nc_u32_e32 v40, 0, v40
	s_waitcnt vmcnt(9)
	ds_store_b128 v40, v[0:3]
	s_waitcnt vmcnt(8)
	ds_store_b128 v40, v[4:7] offset:2912
	s_waitcnt vmcnt(7)
	ds_store_b128 v40, v[8:11] offset:5824
	s_waitcnt vmcnt(6)
	ds_store_b128 v40, v[12:15] offset:8736
	s_waitcnt vmcnt(5)
	ds_store_b128 v40, v[16:19] offset:11648
	s_waitcnt vmcnt(4)
	ds_store_b128 v40, v[20:23] offset:14560
	s_waitcnt vmcnt(3)
	ds_store_b128 v40, v[24:27] offset:17472
	s_waitcnt vmcnt(2)
	ds_store_b128 v40, v[28:31] offset:20384
	s_waitcnt vmcnt(1)
	ds_store_b128 v40, v[32:35] offset:23296
	s_waitcnt vmcnt(0)
	ds_store_b128 v40, v[36:39] offset:26208
.LBB0_13:
	s_or_b32 exec_lo, exec_lo, s1
	s_delay_alu instid0(VALU_DEP_1)
	v_lshl_add_u32 v250, v70, 4, 0
	s_load_b64 s[2:3], s[2:3], 0x0
	s_waitcnt lgkmcnt(0)
	s_barrier
	buffer_gl0_inv
	ds_load_b128 v[0:3], v250 offset:14560
	ds_load_b128 v[4:7], v250 offset:20384
	;; [unrolled: 1-line block ×9, first 2 shown]
	ds_load_b128 v[36:39], v250
	s_mov_b32 s4, 0x134454ff
	s_mov_b32 s5, 0x3fee6f0e
	;; [unrolled: 1-line block ×12, first 2 shown]
	s_waitcnt lgkmcnt(8)
	v_add_f64 v[40:41], v[0:1], v[4:5]
	v_add_f64 v[46:47], v[2:3], v[6:7]
	s_waitcnt lgkmcnt(6)
	v_add_f64 v[42:43], v[14:15], v[10:11]
	v_add_f64 v[44:45], v[12:13], v[8:9]
	v_add_f64 v[48:49], v[14:15], -v[10:11]
	v_add_f64 v[50:51], v[2:3], -v[6:7]
	v_add_f64 v[52:53], v[0:1], -v[4:5]
	v_add_f64 v[54:55], v[12:13], -v[8:9]
	s_waitcnt lgkmcnt(3)
	v_add_f64 v[56:57], v[20:21], v[24:25]
	s_waitcnt lgkmcnt(2)
	v_add_f64 v[58:59], v[16:17], v[28:29]
	v_add_f64 v[60:61], v[22:23], v[26:27]
	;; [unrolled: 1-line block ×3, first 2 shown]
	v_add_f64 v[64:65], v[12:13], -v[0:1]
	v_add_f64 v[66:67], v[8:9], -v[4:5]
	v_add_f64 v[74:75], v[0:1], -v[12:13]
	v_add_f64 v[76:77], v[4:5], -v[8:9]
	v_add_f64 v[78:79], v[2:3], -v[14:15]
	v_add_f64 v[80:81], v[6:7], -v[10:11]
	v_add_f64 v[82:83], v[14:15], -v[2:3]
	v_add_f64 v[90:91], v[10:11], -v[6:7]
	s_waitcnt lgkmcnt(1)
	v_add_f64 v[12:13], v[32:33], v[12:13]
	v_add_f64 v[14:15], v[34:35], v[14:15]
	v_add_f64 v[94:95], v[18:19], -v[30:31]
	v_add_f64 v[96:97], v[22:23], -v[26:27]
	;; [unrolled: 1-line block ×4, first 2 shown]
	s_waitcnt lgkmcnt(0)
	s_barrier
	buffer_gl0_inv
	v_fma_f64 v[40:41], v[40:41], -0.5, v[32:33]
	v_fma_f64 v[46:47], v[46:47], -0.5, v[34:35]
	;; [unrolled: 1-line block ×4, first 2 shown]
	v_add_f64 v[32:33], v[36:37], v[16:17]
	v_add_f64 v[34:35], v[38:39], v[18:19]
	v_fma_f64 v[56:57], v[56:57], -0.5, v[36:37]
	v_fma_f64 v[36:37], v[58:59], -0.5, v[36:37]
	;; [unrolled: 1-line block ×4, first 2 shown]
	v_add_f64 v[60:61], v[64:65], v[66:67]
	v_add_f64 v[62:63], v[74:75], v[76:77]
	v_add_f64 v[64:65], v[78:79], v[80:81]
	v_add_f64 v[78:79], v[28:29], -v[24:25]
	v_add_f64 v[80:81], v[24:25], -v[28:29]
	v_add_f64 v[0:1], v[12:13], v[0:1]
	v_add_f64 v[2:3], v[14:15], v[2:3]
	v_fma_f64 v[84:85], v[48:49], s[4:5], v[40:41]
	v_fma_f64 v[40:41], v[48:49], s[0:1], v[40:41]
	;; [unrolled: 1-line block ×11, first 2 shown]
	v_add_f64 v[0:1], v[0:1], v[4:5]
	v_add_f64 v[2:3], v[2:3], v[6:7]
	v_fma_f64 v[66:67], v[50:51], s[10:11], v[84:85]
	v_fma_f64 v[40:41], v[50:51], s[12:13], v[40:41]
	;; [unrolled: 1-line block ×4, first 2 shown]
	v_add_f64 v[50:51], v[82:83], v[90:91]
	v_fma_f64 v[44:45], v[48:49], s[10:11], v[44:45]
	v_fma_f64 v[42:43], v[54:55], s[10:11], v[42:43]
	;; [unrolled: 1-line block ×3, first 2 shown]
	v_add_f64 v[54:55], v[16:17], -v[20:21]
	v_add_f64 v[16:17], v[20:21], -v[16:17]
	;; [unrolled: 1-line block ×6, first 2 shown]
	v_add_f64 v[20:21], v[32:33], v[20:21]
	v_add_f64 v[22:23], v[34:35], v[22:23]
	v_fma_f64 v[32:33], v[96:97], s[0:1], v[36:37]
	v_fma_f64 v[34:35], v[96:97], s[4:5], v[36:37]
	;; [unrolled: 1-line block ×8, first 2 shown]
	v_add_f64 v[8:9], v[0:1], v[8:9]
	v_add_f64 v[10:11], v[2:3], v[10:11]
	v_fma_f64 v[52:53], v[60:61], s[14:15], v[66:67]
	v_fma_f64 v[40:41], v[60:61], s[14:15], v[40:41]
	;; [unrolled: 1-line block ×7, first 2 shown]
	v_add_f64 v[54:55], v[54:55], v[78:79]
	v_add_f64 v[16:17], v[16:17], v[80:81]
	;; [unrolled: 1-line block ×6, first 2 shown]
	v_fma_f64 v[12:13], v[94:95], s[10:11], v[32:33]
	v_fma_f64 v[14:15], v[94:95], s[12:13], v[34:35]
	v_fma_f64 v[24:25], v[100:101], s[12:13], v[36:37]
	v_fma_f64 v[26:27], v[100:101], s[10:11], v[56:57]
	v_fma_f64 v[32:33], v[98:99], s[12:13], v[58:59]
	v_fma_f64 v[34:35], v[98:99], s[10:11], v[38:39]
	v_fma_f64 v[36:37], v[50:51], s[14:15], v[46:47]
	v_mul_f64 v[38:39], v[52:53], s[16:17]
	v_mul_f64 v[56:57], v[40:41], s[16:17]
	;; [unrolled: 1-line block ×8, first 2 shown]
	v_fma_f64 v[4:5], v[54:55], s[14:15], v[4:5]
	v_fma_f64 v[6:7], v[54:55], s[14:15], v[6:7]
	v_add_f64 v[20:21], v[20:21], v[28:29]
	v_add_f64 v[22:23], v[22:23], v[30:31]
	v_fma_f64 v[76:77], v[16:17], s[14:15], v[12:13]
	v_fma_f64 v[16:17], v[16:17], s[14:15], v[14:15]
	;; [unrolled: 1-line block ×8, first 2 shown]
	v_fma_f64 v[42:43], v[42:43], s[4:5], -v[50:51]
	v_fma_f64 v[44:45], v[48:49], s[10:11], -v[56:57]
	v_fma_f64 v[36:37], v[36:37], s[16:17], v[52:53]
	v_fma_f64 v[46:47], v[66:67], s[14:15], v[58:59]
	v_fma_f64 v[48:49], v[74:75], s[0:1], -v[62:63]
	v_fma_f64 v[40:41], v[40:41], s[12:13], -v[64:65]
	v_cmp_gt_u32_e64 s0, 0x8c, v70
                                        ; implicit-def: $vgpr66_vgpr67
                                        ; implicit-def: $vgpr62_vgpr63
                                        ; implicit-def: $vgpr58_vgpr59
	v_add_f64 v[0:1], v[20:21], v[8:9]
	v_add_f64 v[2:3], v[22:23], v[10:11]
	v_add_f64 v[12:13], v[20:21], -v[8:9]
	v_add_f64 v[14:15], v[22:23], -v[10:11]
	v_add_f64 v[52:53], v[4:5], v[24:25]
	v_add_f64 v[4:5], v[4:5], -v[24:25]
	v_add_f64 v[32:33], v[76:77], v[38:39]
	v_add_f64 v[28:29], v[16:17], v[42:43]
	;; [unrolled: 1-line block ×7, first 2 shown]
	v_add_f64 v[8:9], v[76:77], -v[38:39]
	v_add_f64 v[16:17], v[16:17], -v[42:43]
	;; [unrolled: 1-line block ×7, first 2 shown]
	v_mad_u32_u24 v36, 0x90, v70, v250
	ds_store_b128 v36, v[0:3]
	ds_store_b128 v36, v[52:55] offset:16
	ds_store_b128 v36, v[32:35] offset:32
	;; [unrolled: 1-line block ×9, first 2 shown]
	s_waitcnt lgkmcnt(0)
	s_barrier
	buffer_gl0_inv
	s_and_saveexec_b32 s1, s0
	s_cbranch_execz .LBB0_15
; %bb.14:
	ds_load_b128 v[0:3], v250
	ds_load_b128 v[52:55], v250 offset:2240
	ds_load_b128 v[32:35], v250 offset:4480
	;; [unrolled: 1-line block ×12, first 2 shown]
.LBB0_15:
	s_or_b32 exec_lo, exec_lo, s1
	v_and_b32_e32 v36, 0xff, v70
	s_mov_b32 s22, 0x42a4c3d2
	s_mov_b32 s21, 0xbfddbe06
	;; [unrolled: 1-line block ×4, first 2 shown]
	v_mul_lo_u16 v36, 0xcd, v36
	s_mov_b32 s4, 0xe00740e9
	s_mov_b32 s28, 0x66966769
	;; [unrolled: 1-line block ×4, first 2 shown]
	v_lshrrev_b16 v71, 11, v36
	s_mov_b32 s5, 0x3fec55a7
	s_mov_b32 s29, 0xbfefc445
	;; [unrolled: 1-line block ×4, first 2 shown]
	v_mul_lo_u16 v36, v71, 10
	s_mov_b32 s14, 0xebaa3ed8
	s_mov_b32 s12, 0xb2365da1
	;; [unrolled: 1-line block ×4, first 2 shown]
	v_sub_nc_u16 v36, v70, v36
	s_mov_b32 s13, 0xbfd6b1d8
	s_mov_b32 s27, 0xbfcea1e5
	;; [unrolled: 1-line block ×4, first 2 shown]
	v_and_b32_e32 v251, 0xff, v36
	s_mov_b32 s31, 0xbfe5384d
	s_mov_b32 s17, 0xbfef11f4
	;; [unrolled: 1-line block ×4, first 2 shown]
	v_mul_u32_u24_e32 v36, 12, v251
	s_mov_b32 s18, s30
	s_mov_b32 s34, s24
	s_delay_alu instid0(VALU_DEP_1)
	v_lshlrev_b32_e32 v36, 4, v36
	s_clause 0xb
	global_load_b128 v[76:79], v36, s[8:9]
	global_load_b128 v[80:83], v36, s[8:9] offset:176
	global_load_b128 v[84:87], v36, s[8:9] offset:16
	;; [unrolled: 1-line block ×11, first 2 shown]
	s_waitcnt vmcnt(11) lgkmcnt(11)
	v_mul_f64 v[74:75], v[52:53], v[78:79]
	s_waitcnt vmcnt(10) lgkmcnt(0)
	v_mul_f64 v[100:101], v[64:65], v[82:83]
	v_mul_f64 v[78:79], v[54:55], v[78:79]
	v_mul_f64 v[82:83], v[66:67], v[82:83]
	s_waitcnt vmcnt(9)
	v_mul_f64 v[110:111], v[34:35], v[86:87]
	v_mul_f64 v[86:87], v[32:33], v[86:87]
	s_waitcnt vmcnt(8)
	v_mul_f64 v[112:113], v[60:61], v[90:91]
	v_mul_f64 v[90:91], v[62:63], v[90:91]
	;; [unrolled: 3-line block ×3, first 2 shown]
	v_fma_f64 v[74:75], v[54:55], v[76:77], v[74:75]
	v_fma_f64 v[54:55], v[66:67], v[80:81], v[100:101]
	v_fma_f64 v[76:77], v[52:53], v[76:77], -v[78:79]
	v_fma_f64 v[52:53], v[64:65], v[80:81], -v[82:83]
	v_mul_f64 v[66:67], v[30:31], v[94:95]
	v_mul_f64 v[78:79], v[28:29], v[94:95]
	;; [unrolled: 1-line block ×4, first 2 shown]
	v_fma_f64 v[64:65], v[34:35], v[84:85], v[86:87]
	v_fma_f64 v[34:35], v[62:63], v[88:89], v[112:113]
	v_fma_f64 v[62:63], v[32:33], v[84:85], -v[110:111]
	v_fma_f64 v[32:33], v[60:61], v[88:89], -v[90:91]
	v_mul_f64 v[84:85], v[22:23], v[104:105]
	v_mul_f64 v[86:87], v[20:21], v[104:105]
	;; [unrolled: 1-line block ×8, first 2 shown]
	v_add_f64 v[186:187], v[74:75], -v[54:55]
	v_add_f64 v[98:99], v[74:75], v[54:55]
	v_add_f64 v[184:185], v[76:77], -v[52:53]
	v_fma_f64 v[60:61], v[28:29], v[92:93], -v[66:67]
	v_fma_f64 v[66:67], v[30:31], v[92:93], v[78:79]
	v_fma_f64 v[28:29], v[58:59], v[96:97], v[80:81]
	v_fma_f64 v[30:31], v[56:57], v[96:97], -v[82:83]
	v_add_f64 v[92:93], v[76:77], v[52:53]
	v_add_f64 v[206:207], v[64:65], -v[34:35]
	s_clause 0x1
	scratch_store_b64 off, v[52:53], off offset:8
	scratch_store_b64 off, v[54:55], off
	v_add_f64 v[204:205], v[62:63], -v[32:33]
	v_mul_f64 v[96:97], v[14:15], v[50:51]
	v_fma_f64 v[56:57], v[20:21], v[102:103], -v[84:85]
	v_fma_f64 v[58:59], v[22:23], v[102:103], v[86:87]
	v_fma_f64 v[50:51], v[26:27], v[106:107], v[88:89]
	v_fma_f64 v[46:47], v[24:25], v[106:107], -v[94:95]
	v_add_f64 v[78:79], v[62:63], v[32:33]
	v_add_f64 v[82:83], v[64:65], v[34:35]
	v_mul_f64 v[106:107], v[6:7], v[42:43]
	v_fma_f64 v[38:39], v[16:17], v[44:45], -v[108:109]
	v_fma_f64 v[42:43], v[18:19], v[44:45], v[110:111]
	v_mul_f64 v[90:91], v[186:187], s[20:21]
	v_mul_f64 v[138:139], v[186:187], s[22:23]
	;; [unrolled: 1-line block ×5, first 2 shown]
	v_add_f64 v[20:21], v[66:67], -v[28:29]
	v_add_f64 v[234:235], v[60:61], -v[30:31]
	v_mul_f64 v[168:169], v[184:185], s[28:29]
	v_mul_f64 v[52:53], v[206:207], s[22:23]
	;; [unrolled: 1-line block ×3, first 2 shown]
	v_add_f64 v[44:45], v[60:61], v[30:31]
	v_mul_f64 v[54:55], v[204:205], s[22:23]
	v_mul_f64 v[116:117], v[204:205], s[24:25]
	v_fma_f64 v[86:87], v[12:13], v[48:49], -v[96:97]
	v_fma_f64 v[48:49], v[14:15], v[48:49], v[104:105]
	v_add_f64 v[236:237], v[58:59], -v[50:51]
	v_add_f64 v[252:253], v[56:57], -v[46:47]
	v_add_f64 v[94:95], v[66:67], v[28:29]
	v_mul_f64 v[120:121], v[206:207], s[26:27]
	v_mul_f64 v[122:123], v[204:205], s[26:27]
	;; [unrolled: 1-line block ×4, first 2 shown]
	v_fma_f64 v[104:105], v[6:7], v[40:41], v[112:113]
	v_add_f64 v[110:111], v[58:59], v[50:51]
	v_mul_f64 v[230:231], v[186:187], s[30:31]
	v_mul_f64 v[232:233], v[184:185], s[30:31]
	;; [unrolled: 1-line block ×4, first 2 shown]
	s_mov_b32 s21, 0x3fddbe06
	v_fma_f64 v[22:23], v[92:93], s[4:5], v[90:91]
	v_fma_f64 v[26:27], v[92:93], s[10:11], v[138:139]
	v_fma_f64 v[24:25], v[98:99], s[4:5], -v[100:101]
	v_fma_f64 v[102:103], v[98:99], s[10:11], -v[144:145]
	v_mul_f64 v[88:89], v[20:21], s[28:29]
	v_mul_f64 v[96:97], v[234:235], s[28:29]
	;; [unrolled: 1-line block ×4, first 2 shown]
	v_fma_f64 v[12:13], v[78:79], s[10:11], v[52:53]
	v_fma_f64 v[134:135], v[78:79], s[12:13], v[114:115]
	v_fma_f64 v[16:17], v[82:83], s[10:11], -v[54:55]
	v_fma_f64 v[136:137], v[82:83], s[12:13], -v[116:117]
	v_add_f64 v[6:7], v[86:87], -v[38:39]
	v_mul_f64 v[170:171], v[20:21], s[20:21]
	v_mul_f64 v[108:109], v[236:237], s[24:25]
	;; [unrolled: 1-line block ×5, first 2 shown]
	s_mov_b32 s18, 0xd0032e0c
	v_fma_f64 v[152:153], v[92:93], s[12:13], v[224:225]
	v_fma_f64 v[164:165], v[98:99], s[12:13], -v[228:229]
	s_mov_b32 s19, 0xbfe7f3cc
	v_mul_f64 v[176:177], v[236:237], s[20:21]
	v_mul_f64 v[178:179], v[252:253], s[20:21]
	v_fma_f64 v[198:199], v[92:93], s[18:19], v[230:231]
	v_mul_f64 v[172:173], v[234:235], s[20:21]
	v_fma_f64 v[200:201], v[98:99], s[18:19], -v[232:233]
	v_fma_f64 v[202:203], v[78:79], s[18:19], v[158:159]
	v_fma_f64 v[210:211], v[82:83], s[18:19], -v[160:161]
	v_mul_f64 v[174:175], v[236:237], s[28:29]
	v_mul_f64 v[166:167], v[234:235], s[22:23]
	s_clause 0x1
	scratch_store_b64 off, v[52:53], off offset:16
	scratch_store_b64 off, v[54:55], off offset:24
	s_waitcnt_vscnt null, 0x0
	s_barrier
	buffer_gl0_inv
	v_add_f64 v[14:15], v[0:1], v[22:23]
	v_fma_f64 v[22:23], v[92:93], s[14:15], v[162:163]
	v_add_f64 v[18:19], v[2:3], v[24:25]
	v_fma_f64 v[24:25], v[98:99], s[14:15], -v[168:169]
	v_add_f64 v[26:27], v[0:1], v[26:27]
	v_add_f64 v[140:141], v[2:3], v[102:103]
	v_fma_f64 v[102:103], v[4:5], v[40:41], -v[106:107]
	v_fma_f64 v[40:41], v[8:9], v[36:37], -v[126:127]
	v_fma_f64 v[36:37], v[10:11], v[36:37], v[128:129]
	v_add_f64 v[106:107], v[56:57], v[46:47]
	v_add_f64 v[4:5], v[48:49], -v[42:43]
	v_mul_f64 v[126:127], v[20:21], s[34:35]
	v_mul_f64 v[128:129], v[234:235], s[34:35]
	v_fma_f64 v[8:9], v[44:45], s[14:15], v[88:89]
	v_fma_f64 v[146:147], v[44:45], s[16:17], v[118:119]
	v_fma_f64 v[148:149], v[94:95], s[16:17], -v[124:125]
	s_mov_b32 s35, 0x3fefc445
	s_mov_b32 s34, s28
	v_mul_f64 v[142:143], v[6:7], s[30:31]
	v_mul_f64 v[190:191], v[6:7], s[34:35]
	;; [unrolled: 1-line block ×4, first 2 shown]
	v_fma_f64 v[192:193], v[110:111], s[18:19], -v[132:133]
	v_add_f64 v[208:209], v[0:1], v[152:153]
	v_add_f64 v[212:213], v[2:3], v[164:165]
	v_mul_f64 v[194:195], v[6:7], s[22:23]
	v_mul_f64 v[164:165], v[20:21], s[22:23]
	v_add_f64 v[238:239], v[0:1], v[198:199]
	v_add_f64 v[242:243], v[2:3], v[200:201]
	v_fma_f64 v[244:245], v[44:45], s[4:5], v[170:171]
	v_mul_f64 v[198:199], v[252:253], s[28:29]
	s_mov_b32 s29, 0x3fcea1e5
	s_mov_b32 s28, s26
	s_delay_alu instid0(SALU_CYCLE_1)
	v_mul_f64 v[200:201], v[6:7], s[28:29]
	v_add_f64 v[10:11], v[12:13], v[14:15]
	v_fma_f64 v[12:13], v[94:95], s[14:15], -v[96:97]
	v_add_f64 v[14:15], v[16:17], v[18:19]
	v_fma_f64 v[16:17], v[78:79], s[16:17], v[120:121]
	v_add_f64 v[18:19], v[0:1], v[22:23]
	v_fma_f64 v[22:23], v[82:83], s[16:17], -v[122:123]
	v_add_f64 v[24:25], v[2:3], v[24:25]
	v_add_f64 v[26:27], v[134:135], v[26:27]
	;; [unrolled: 1-line block ×5, first 2 shown]
	v_add_f64 v[254:255], v[104:105], -v[36:37]
	v_add_f64 v[80:81], v[102:103], -v[40:41]
	v_mul_f64 v[136:137], v[4:5], s[30:31]
	v_mul_f64 v[182:183], v[4:5], s[34:35]
	v_fma_f64 v[180:181], v[106:107], s[12:13], v[108:109]
	v_mul_f64 v[188:189], v[4:5], s[22:23]
	v_fma_f64 v[54:55], v[106:107], s[14:15], v[174:175]
	s_mov_b32 s23, 0x3fea55e2
	v_fma_f64 v[226:227], v[78:79], s[14:15], v[154:155]
	v_fma_f64 v[240:241], v[82:83], s[14:15], -v[156:157]
	v_add_f64 v[202:203], v[202:203], v[208:209]
	v_fma_f64 v[208:209], v[94:95], s[4:5], -v[172:173]
	v_add_f64 v[212:213], v[210:211], v[212:213]
	;; [unrolled: 2-line block ×4, first 2 shown]
	v_fma_f64 v[14:15], v[44:45], s[12:13], v[126:127]
	v_add_f64 v[16:17], v[16:17], v[18:19]
	v_fma_f64 v[18:19], v[94:95], s[12:13], -v[128:129]
	v_add_f64 v[22:23], v[22:23], v[24:25]
	v_fma_f64 v[24:25], v[106:107], s[18:19], v[130:131]
	v_add_f64 v[26:27], v[146:147], v[26:27]
	v_add_f64 v[196:197], v[148:149], v[150:151]
	;; [unrolled: 1-line block ×4, first 2 shown]
	v_mul_f64 v[148:149], v[254:255], s[26:27]
	v_mul_f64 v[152:153], v[80:81], s[26:27]
	;; [unrolled: 1-line block ×4, first 2 shown]
	v_fma_f64 v[214:215], v[134:135], s[18:19], v[136:137]
	v_fma_f64 v[220:221], v[140:141], s[18:19], -v[142:143]
	v_mul_f64 v[210:211], v[254:255], s[30:31]
	v_mul_f64 v[216:217], v[80:81], s[30:31]
	v_add_f64 v[226:227], v[226:227], v[238:239]
	v_fma_f64 v[238:239], v[44:45], s[10:11], v[164:165]
	v_add_f64 v[240:241], v[240:241], v[242:243]
	v_fma_f64 v[242:243], v[94:95], s[10:11], -v[166:167]
	v_add_f64 v[244:245], v[244:245], v[202:203]
	v_add_f64 v[212:213], v[208:209], v[212:213]
	v_mul_f64 v[202:203], v[4:5], s[20:21]
	v_mul_f64 v[208:209], v[6:7], s[20:21]
	v_add_f64 v[8:9], v[180:181], v[8:9]
	v_mul_f64 v[180:181], v[236:237], s[28:29]
	v_add_f64 v[10:11], v[10:11], v[12:13]
	v_fma_f64 v[12:13], v[106:107], s[4:5], v[176:177]
	v_add_f64 v[14:15], v[14:15], v[16:17]
	v_fma_f64 v[16:17], v[110:111], s[4:5], -v[178:179]
	v_add_f64 v[18:19], v[18:19], v[22:23]
	v_fma_f64 v[22:23], v[134:135], s[14:15], v[182:183]
	v_add_f64 v[24:25], v[24:25], v[26:27]
	v_fma_f64 v[26:27], v[140:141], s[14:15], -v[190:191]
	v_add_f64 v[192:193], v[192:193], v[196:197]
	v_mul_f64 v[196:197], v[4:5], s[28:29]
	v_fma_f64 v[246:247], v[146:147], s[16:17], v[148:149]
	v_fma_f64 v[84:85], v[146:147], s[4:5], v[218:219]
	v_add_f64 v[54:55], v[54:55], v[244:245]
	v_add_f64 v[52:53], v[52:53], v[212:213]
	v_mul_f64 v[212:213], v[254:255], s[24:25]
	v_mul_f64 v[244:245], v[204:205], s[20:21]
	v_mul_f64 v[204:205], v[4:5], s[24:25]
	v_add_f64 v[8:9], v[214:215], v[8:9]
	v_fma_f64 v[214:215], v[150:151], s[16:17], -v[152:153]
	v_add_f64 v[10:11], v[220:221], v[10:11]
	v_fma_f64 v[220:221], v[134:135], s[10:11], v[188:189]
	v_add_f64 v[12:13], v[12:13], v[14:15]
	v_fma_f64 v[14:15], v[140:141], s[10:11], -v[194:195]
	v_add_f64 v[248:249], v[16:17], v[18:19]
	v_add_f64 v[22:23], v[22:23], v[24:25]
	v_fma_f64 v[24:25], v[150:151], s[4:5], -v[222:223]
	v_add_f64 v[26:27], v[26:27], v[192:193]
	v_mul_f64 v[192:193], v[252:253], s[28:29]
	v_add_f64 v[16:17], v[246:247], v[8:9]
	v_fma_f64 v[246:247], v[150:151], s[18:19], -v[216:217]
	v_add_f64 v[18:19], v[214:215], v[10:11]
	v_mul_f64 v[214:215], v[254:255], s[22:23]
	v_add_f64 v[12:13], v[220:221], v[12:13]
	v_fma_f64 v[220:221], v[146:147], s[18:19], v[210:211]
	v_add_f64 v[14:15], v[14:15], v[248:249]
	v_mul_f64 v[248:249], v[184:185], s[26:27]
	v_add_f64 v[8:9], v[84:85], v[22:23]
	v_fma_f64 v[22:23], v[106:107], s[16:17], v[180:181]
	v_add_f64 v[10:11], v[24:25], v[26:27]
	v_add_f64 v[24:25], v[238:239], v[226:227]
	v_fma_f64 v[26:27], v[110:111], s[16:17], -v[192:193]
	v_add_f64 v[84:85], v[242:243], v[240:241]
	v_fma_f64 v[238:239], v[134:135], s[16:17], v[196:197]
	v_fma_f64 v[240:241], v[140:141], s[16:17], -v[200:201]
	v_mul_f64 v[226:227], v[80:81], s[22:23]
	v_fma_f64 v[184:185], v[146:147], s[12:13], v[212:213]
	v_add_f64 v[12:13], v[220:221], v[12:13]
	v_add_f64 v[14:15], v[246:247], v[14:15]
	v_mul_f64 v[220:221], v[80:81], s[24:25]
	v_mul_f64 v[246:247], v[186:187], s[26:27]
	v_add_f64 v[22:23], v[22:23], v[24:25]
	v_fma_f64 v[24:25], v[134:135], s[4:5], v[202:203]
	v_add_f64 v[26:27], v[26:27], v[84:85]
	v_fma_f64 v[84:85], v[140:141], s[4:5], -v[208:209]
	v_add_f64 v[54:55], v[238:239], v[54:55]
	v_fma_f64 v[238:239], v[146:147], s[10:11], v[214:215]
	v_add_f64 v[52:53], v[240:241], v[52:53]
	v_fma_f64 v[242:243], v[150:151], s[10:11], -v[226:227]
	v_mul_f64 v[240:241], v[206:207], s[20:21]
	v_mul_f64 v[206:207], v[6:7], s[24:25]
	v_fma_f64 v[6:7], v[134:135], s[12:13], v[204:205]
	v_fma_f64 v[186:187], v[150:151], s[12:13], -v[220:221]
	v_add_f64 v[22:23], v[24:25], v[22:23]
	v_add_f64 v[84:85], v[84:85], v[26:27]
	;; [unrolled: 1-line block ×3, first 2 shown]
	v_fma_f64 v[54:55], v[98:99], s[16:17], -v[248:249]
	v_add_f64 v[26:27], v[242:243], v[52:53]
	v_fma_f64 v[52:53], v[92:93], s[16:17], v[246:247]
	v_mul_f64 v[238:239], v[20:21], s[30:31]
	v_mul_f64 v[242:243], v[234:235], s[30:31]
	;; [unrolled: 1-line block ×4, first 2 shown]
	v_add_f64 v[20:21], v[184:185], v[22:23]
	v_fma_f64 v[184:185], v[82:83], s[4:5], -v[244:245]
	v_add_f64 v[22:23], v[186:187], v[84:85]
	v_fma_f64 v[84:85], v[78:79], s[4:5], v[240:241]
	v_mul_f64 v[186:187], v[80:81], s[34:35]
	v_add_f64 v[54:55], v[2:3], v[54:55]
	v_add_f64 v[52:53], v[0:1], v[52:53]
	s_delay_alu instid0(VALU_DEP_2) | instskip(SKIP_1) | instid1(VALU_DEP_3)
	v_add_f64 v[54:55], v[184:185], v[54:55]
	v_fma_f64 v[184:185], v[94:95], s[18:19], -v[242:243]
	v_add_f64 v[52:53], v[84:85], v[52:53]
	v_fma_f64 v[84:85], v[44:45], s[18:19], v[238:239]
	s_delay_alu instid0(VALU_DEP_3) | instskip(SKIP_1) | instid1(VALU_DEP_3)
	v_add_f64 v[54:55], v[184:185], v[54:55]
	v_mul_f64 v[184:185], v[254:255], s[34:35]
	v_add_f64 v[4:5], v[84:85], v[52:53]
	v_fma_f64 v[52:53], v[106:107], s[10:11], v[234:235]
	v_fma_f64 v[84:85], v[110:111], s[10:11], -v[236:237]
	s_delay_alu instid0(VALU_DEP_2) | instskip(NEXT) | instid1(VALU_DEP_2)
	v_add_f64 v[4:5], v[52:53], v[4:5]
	v_add_f64 v[52:53], v[84:85], v[54:55]
	v_fma_f64 v[54:55], v[140:141], s[12:13], -v[206:207]
	s_delay_alu instid0(VALU_DEP_3) | instskip(SKIP_1) | instid1(VALU_DEP_3)
	v_add_f64 v[4:5], v[6:7], v[4:5]
	v_fma_f64 v[6:7], v[146:147], s[14:15], v[184:185]
	v_add_f64 v[52:53], v[54:55], v[52:53]
	v_fma_f64 v[54:55], v[150:151], s[14:15], -v[186:187]
	s_delay_alu instid0(VALU_DEP_3) | instskip(NEXT) | instid1(VALU_DEP_2)
	v_add_f64 v[4:5], v[6:7], v[4:5]
	v_add_f64 v[6:7], v[54:55], v[52:53]
	s_and_saveexec_b32 s1, s0
	s_cbranch_execz .LBB0_17
; %bb.16:
	v_mul_f64 v[84:85], v[98:99], s[12:13]
	v_mul_f64 v[52:53], v[98:99], s[16:17]
	;; [unrolled: 1-line block ×4, first 2 shown]
	s_delay_alu instid0(VALU_DEP_4)
	v_add_f64 v[84:85], v[228:229], v[84:85]
	v_mul_f64 v[228:229], v[92:93], s[12:13]
	v_add_f64 v[52:53], v[248:249], v[52:53]
	v_add_f64 v[54:55], v[54:55], -v[246:247]
	v_add_f64 v[80:81], v[232:233], v[80:81]
	v_add_f64 v[232:233], v[0:1], v[76:77]
	;; [unrolled: 1-line block ×3, first 2 shown]
	v_add_f64 v[224:225], v[228:229], -v[224:225]
	v_mul_f64 v[228:229], v[98:99], s[14:15]
	v_add_f64 v[52:53], v[2:3], v[52:53]
	v_add_f64 v[54:55], v[0:1], v[54:55]
	;; [unrolled: 1-line block ×3, first 2 shown]
	s_delay_alu instid0(VALU_DEP_4) | instskip(SKIP_1) | instid1(VALU_DEP_1)
	v_add_f64 v[168:169], v[168:169], v[228:229]
	v_mul_f64 v[228:229], v[92:93], s[14:15]
	v_add_f64 v[162:163], v[228:229], -v[162:163]
	v_mul_f64 v[228:229], v[98:99], s[10:11]
	v_mul_f64 v[98:99], v[98:99], s[4:5]
	s_delay_alu instid0(VALU_DEP_2) | instskip(SKIP_1) | instid1(VALU_DEP_3)
	v_add_f64 v[144:145], v[144:145], v[228:229]
	v_mul_f64 v[228:229], v[92:93], s[10:11]
	v_add_f64 v[98:99], v[100:101], v[98:99]
	v_add_f64 v[100:101], v[0:1], v[162:163]
	s_delay_alu instid0(VALU_DEP_3)
	v_add_f64 v[138:139], v[228:229], -v[138:139]
	v_mul_f64 v[228:229], v[92:93], s[18:19]
	v_mul_f64 v[92:93], v[92:93], s[4:5]
	v_add_f64 v[162:163], v[2:3], v[98:99]
	v_mul_f64 v[98:99], v[44:45], s[18:19]
	v_add_f64 v[76:77], v[0:1], v[138:139]
	v_add_f64 v[228:229], v[228:229], -v[230:231]
	v_add_f64 v[90:91], v[92:93], -v[90:91]
	v_add_f64 v[230:231], v[2:3], v[74:75]
	v_add_f64 v[92:93], v[2:3], v[168:169]
	;; [unrolled: 1-line block ×4, first 2 shown]
	v_mul_f64 v[2:3], v[78:79], s[4:5]
	v_add_f64 v[98:99], v[98:99], -v[238:239]
	v_mul_f64 v[224:225], v[110:111], s[10:11]
	v_add_f64 v[144:145], v[0:1], v[228:229]
	v_add_f64 v[168:169], v[0:1], v[90:91]
	v_mul_f64 v[0:1], v[82:83], s[4:5]
	v_mul_f64 v[90:91], v[94:95], s[18:19]
	;; [unrolled: 1-line block ×3, first 2 shown]
	v_add_f64 v[2:3], v[2:3], -v[240:241]
	v_add_f64 v[224:225], v[236:237], v[224:225]
	v_add_f64 v[0:1], v[244:245], v[0:1]
	;; [unrolled: 1-line block ×3, first 2 shown]
	v_add_f64 v[228:229], v[228:229], -v[234:235]
	v_mul_f64 v[234:235], v[140:141], s[12:13]
	v_add_f64 v[2:3], v[2:3], v[54:55]
	v_mul_f64 v[54:55], v[150:151], s[14:15]
	v_add_f64 v[0:1], v[0:1], v[52:53]
	;; [unrolled: 2-line block ×3, first 2 shown]
	v_add_f64 v[2:3], v[98:99], v[2:3]
	v_add_f64 v[54:55], v[186:187], v[54:55]
	v_mul_f64 v[98:99], v[44:45], s[16:17]
	v_add_f64 v[0:1], v[90:91], v[0:1]
	v_add_f64 v[52:53], v[52:53], -v[204:205]
	v_mul_f64 v[90:91], v[146:147], s[14:15]
	v_add_f64 v[2:3], v[228:229], v[2:3]
	v_add_f64 v[98:99], v[98:99], -v[118:119]
	;; [unrolled: 3-line block ×3, first 2 shown]
	v_add_f64 v[52:53], v[52:53], v[2:3]
	s_delay_alu instid0(VALU_DEP_4) | instskip(NEXT) | instid1(VALU_DEP_4)
	v_add_f64 v[118:119], v[190:191], v[118:119]
	v_add_f64 v[0:1], v[206:207], v[0:1]
	s_delay_alu instid0(VALU_DEP_1) | instskip(NEXT) | instid1(VALU_DEP_4)
	v_add_f64 v[2:3], v[54:55], v[0:1]
	v_add_f64 v[0:1], v[90:91], v[52:53]
	v_mul_f64 v[52:53], v[82:83], s[12:13]
	v_mul_f64 v[54:55], v[78:79], s[12:13]
	;; [unrolled: 1-line block ×3, first 2 shown]
	s_delay_alu instid0(VALU_DEP_3) | instskip(NEXT) | instid1(VALU_DEP_3)
	v_add_f64 v[52:53], v[116:117], v[52:53]
	v_add_f64 v[54:55], v[54:55], -v[114:115]
	s_delay_alu instid0(VALU_DEP_3)
	v_add_f64 v[90:91], v[124:125], v[90:91]
	v_mul_f64 v[114:115], v[110:111], s[18:19]
	v_mul_f64 v[116:117], v[106:107], s[18:19]
	v_add_f64 v[52:53], v[52:53], v[74:75]
	v_add_f64 v[54:55], v[54:55], v[76:77]
	v_mul_f64 v[74:75], v[134:135], s[14:15]
	v_add_f64 v[114:115], v[132:133], v[114:115]
	v_add_f64 v[116:117], v[116:117], -v[130:131]
	v_mul_f64 v[76:77], v[150:151], s[4:5]
	v_add_f64 v[52:53], v[90:91], v[52:53]
	v_add_f64 v[54:55], v[98:99], v[54:55]
	v_add_f64 v[74:75], v[74:75], -v[182:183]
	v_mul_f64 v[90:91], v[146:147], s[4:5]
	v_mul_f64 v[98:99], v[44:45], s[12:13]
	v_add_f64 v[76:77], v[222:223], v[76:77]
	v_add_f64 v[52:53], v[114:115], v[52:53]
	;; [unrolled: 1-line block ×3, first 2 shown]
	v_mul_f64 v[114:115], v[110:111], s[4:5]
	v_add_f64 v[90:91], v[90:91], -v[218:219]
	v_add_f64 v[98:99], v[98:99], -v[126:127]
	v_mul_f64 v[116:117], v[106:107], s[4:5]
	v_add_f64 v[52:53], v[118:119], v[52:53]
	v_add_f64 v[54:55], v[74:75], v[54:55]
	;; [unrolled: 1-line block ×3, first 2 shown]
	v_mul_f64 v[118:119], v[140:141], s[10:11]
	v_add_f64 v[116:117], v[116:117], -v[176:177]
	v_add_f64 v[76:77], v[76:77], v[52:53]
	v_add_f64 v[74:75], v[90:91], v[54:55]
	v_mul_f64 v[52:53], v[82:83], s[16:17]
	v_mul_f64 v[54:55], v[78:79], s[16:17]
	;; [unrolled: 1-line block ×3, first 2 shown]
	v_add_f64 v[118:119], v[194:195], v[118:119]
	s_delay_alu instid0(VALU_DEP_4) | instskip(NEXT) | instid1(VALU_DEP_4)
	v_add_f64 v[52:53], v[122:123], v[52:53]
	v_add_f64 v[54:55], v[54:55], -v[120:121]
	s_delay_alu instid0(VALU_DEP_4) | instskip(SKIP_1) | instid1(VALU_DEP_4)
	v_add_f64 v[90:91], v[128:129], v[90:91]
	v_mul_f64 v[120:121], v[140:141], s[4:5]
	v_add_f64 v[52:53], v[52:53], v[92:93]
	s_delay_alu instid0(VALU_DEP_4)
	v_add_f64 v[54:55], v[54:55], v[100:101]
	v_mul_f64 v[92:93], v[134:135], s[10:11]
	v_mul_f64 v[100:101], v[44:45], s[4:5]
	v_add_f64 v[120:121], v[208:209], v[120:121]
	v_add_f64 v[52:53], v[90:91], v[52:53]
	;; [unrolled: 1-line block ×3, first 2 shown]
	v_add_f64 v[92:93], v[92:93], -v[188:189]
	v_mul_f64 v[90:91], v[150:151], s[18:19]
	v_mul_f64 v[98:99], v[146:147], s[18:19]
	v_add_f64 v[100:101], v[100:101], -v[170:171]
	v_add_f64 v[52:53], v[114:115], v[52:53]
	v_add_f64 v[54:55], v[116:117], v[54:55]
	v_mul_f64 v[114:115], v[110:111], s[14:15]
	v_add_f64 v[90:91], v[216:217], v[90:91]
	v_add_f64 v[98:99], v[98:99], -v[210:211]
	v_mul_f64 v[116:117], v[106:107], s[14:15]
	v_add_f64 v[52:53], v[118:119], v[52:53]
	v_add_f64 v[54:55], v[92:93], v[54:55]
	;; [unrolled: 1-line block ×3, first 2 shown]
	v_mul_f64 v[118:119], v[140:141], s[16:17]
	v_add_f64 v[116:117], v[116:117], -v[174:175]
	v_add_f64 v[92:93], v[90:91], v[52:53]
	v_add_f64 v[90:91], v[98:99], v[54:55]
	v_mul_f64 v[52:53], v[82:83], s[18:19]
	v_mul_f64 v[54:55], v[78:79], s[18:19]
	;; [unrolled: 1-line block ×3, first 2 shown]
	v_add_f64 v[118:119], v[200:201], v[118:119]
	s_delay_alu instid0(VALU_DEP_4) | instskip(NEXT) | instid1(VALU_DEP_4)
	v_add_f64 v[52:53], v[160:161], v[52:53]
	v_add_f64 v[54:55], v[54:55], -v[158:159]
	s_delay_alu instid0(VALU_DEP_4) | instskip(NEXT) | instid1(VALU_DEP_3)
	v_add_f64 v[98:99], v[172:173], v[98:99]
	v_add_f64 v[52:53], v[52:53], v[84:85]
	s_delay_alu instid0(VALU_DEP_3) | instskip(SKIP_1) | instid1(VALU_DEP_3)
	v_add_f64 v[54:55], v[54:55], v[138:139]
	v_mul_f64 v[84:85], v[134:135], s[16:17]
	v_add_f64 v[52:53], v[98:99], v[52:53]
	s_delay_alu instid0(VALU_DEP_3) | instskip(NEXT) | instid1(VALU_DEP_3)
	v_add_f64 v[54:55], v[100:101], v[54:55]
	v_add_f64 v[84:85], v[84:85], -v[196:197]
	v_mul_f64 v[98:99], v[150:151], s[10:11]
	v_mul_f64 v[100:101], v[146:147], s[10:11]
	v_add_f64 v[52:53], v[114:115], v[52:53]
	v_add_f64 v[54:55], v[116:117], v[54:55]
	v_mul_f64 v[116:117], v[110:111], s[16:17]
	v_add_f64 v[98:99], v[226:227], v[98:99]
	v_add_f64 v[114:115], v[100:101], -v[214:215]
	v_add_f64 v[52:53], v[118:119], v[52:53]
	v_add_f64 v[54:55], v[84:85], v[54:55]
	v_mul_f64 v[118:119], v[106:107], s[16:17]
	v_mul_f64 v[84:85], v[94:95], s[10:11]
	v_add_f64 v[116:117], v[192:193], v[116:117]
	v_add_f64 v[100:101], v[98:99], v[52:53]
	;; [unrolled: 1-line block ×3, first 2 shown]
	v_mul_f64 v[54:55], v[78:79], s[14:15]
	v_mul_f64 v[52:53], v[82:83], s[14:15]
	;; [unrolled: 1-line block ×3, first 2 shown]
	v_add_f64 v[118:119], v[118:119], -v[180:181]
	v_add_f64 v[84:85], v[166:167], v[84:85]
	v_mul_f64 v[44:45], v[44:45], s[14:15]
	v_add_f64 v[54:55], v[54:55], -v[154:155]
	v_add_f64 v[52:53], v[156:157], v[52:53]
	v_add_f64 v[114:115], v[114:115], -v[164:165]
	s_delay_alu instid0(VALU_DEP_4) | instskip(SKIP_4) | instid1(VALU_DEP_4)
	v_add_f64 v[44:45], v[44:45], -v[88:89]
	v_mul_f64 v[88:89], v[134:135], s[18:19]
	v_add_f64 v[54:55], v[54:55], v[144:145]
	v_add_f64 v[52:53], v[52:53], v[80:81]
	v_mul_f64 v[80:81], v[134:135], s[4:5]
	v_add_f64 v[88:89], v[88:89], -v[136:137]
	s_delay_alu instid0(VALU_DEP_4) | instskip(SKIP_1) | instid1(VALU_DEP_4)
	v_add_f64 v[54:55], v[114:115], v[54:55]
	v_mul_f64 v[114:115], v[146:147], s[12:13]
	v_add_f64 v[80:81], v[80:81], -v[202:203]
	v_add_f64 v[52:53], v[84:85], v[52:53]
	v_mul_f64 v[84:85], v[150:151], s[12:13]
	v_add_f64 v[54:55], v[118:119], v[54:55]
	v_add_f64 v[114:115], v[114:115], -v[212:213]
	s_delay_alu instid0(VALU_DEP_4) | instskip(NEXT) | instid1(VALU_DEP_4)
	v_add_f64 v[52:53], v[116:117], v[52:53]
	v_add_f64 v[84:85], v[220:221], v[84:85]
	s_delay_alu instid0(VALU_DEP_4) | instskip(SKIP_1) | instid1(VALU_DEP_4)
	v_add_f64 v[54:55], v[80:81], v[54:55]
	v_mul_f64 v[80:81], v[110:111], s[12:13]
	v_add_f64 v[52:53], v[120:121], v[52:53]
	s_delay_alu instid0(VALU_DEP_3)
	v_add_f64 v[114:115], v[114:115], v[54:55]
	scratch_load_b64 v[54:55], off, off offset:24 ; 8-byte Folded Reload
	v_add_f64 v[80:81], v[112:113], v[80:81]
	v_add_f64 v[116:117], v[84:85], v[52:53]
	v_mul_f64 v[52:53], v[82:83], s[10:11]
	v_mul_f64 v[82:83], v[106:107], s[12:13]
	;; [unrolled: 1-line block ×3, first 2 shown]
	s_delay_alu instid0(VALU_DEP_2) | instskip(NEXT) | instid1(VALU_DEP_2)
	v_add_f64 v[82:83], v[82:83], -v[108:109]
	v_add_f64 v[84:85], v[142:143], v[84:85]
	s_waitcnt vmcnt(0)
	v_add_f64 v[52:53], v[54:55], v[52:53]
	v_mul_f64 v[54:55], v[78:79], s[10:11]
	scratch_load_b64 v[78:79], off, off offset:16 ; 8-byte Folded Reload
	v_add_f64 v[52:53], v[52:53], v[162:163]
	s_waitcnt vmcnt(0)
	v_add_f64 v[54:55], v[54:55], -v[78:79]
	v_mul_f64 v[78:79], v[94:95], s[14:15]
	s_delay_alu instid0(VALU_DEP_2) | instskip(NEXT) | instid1(VALU_DEP_2)
	v_add_f64 v[54:55], v[54:55], v[168:169]
	v_add_f64 v[78:79], v[96:97], v[78:79]
	s_delay_alu instid0(VALU_DEP_2) | instskip(NEXT) | instid1(VALU_DEP_2)
	v_add_f64 v[44:45], v[44:45], v[54:55]
	v_add_f64 v[52:53], v[78:79], v[52:53]
	v_mul_f64 v[54:55], v[150:151], s[16:17]
	v_mul_f64 v[78:79], v[146:147], s[16:17]
	s_delay_alu instid0(VALU_DEP_4) | instskip(NEXT) | instid1(VALU_DEP_4)
	v_add_f64 v[44:45], v[82:83], v[44:45]
	v_add_f64 v[52:53], v[80:81], v[52:53]
	s_delay_alu instid0(VALU_DEP_4) | instskip(NEXT) | instid1(VALU_DEP_4)
	v_add_f64 v[54:55], v[152:153], v[54:55]
	v_add_f64 v[78:79], v[78:79], -v[148:149]
	s_delay_alu instid0(VALU_DEP_4) | instskip(NEXT) | instid1(VALU_DEP_4)
	v_add_f64 v[44:45], v[88:89], v[44:45]
	v_add_f64 v[52:53], v[84:85], v[52:53]
	s_delay_alu instid0(VALU_DEP_2) | instskip(NEXT) | instid1(VALU_DEP_2)
	v_add_f64 v[78:79], v[78:79], v[44:45]
	v_add_f64 v[80:81], v[54:55], v[52:53]
	;; [unrolled: 1-line block ×4, first 2 shown]
	s_delay_alu instid0(VALU_DEP_2) | instskip(NEXT) | instid1(VALU_DEP_2)
	v_add_f64 v[44:45], v[44:45], v[66:67]
	v_add_f64 v[52:53], v[52:53], v[60:61]
	s_delay_alu instid0(VALU_DEP_2) | instskip(NEXT) | instid1(VALU_DEP_2)
	v_add_f64 v[44:45], v[44:45], v[58:59]
	v_add_f64 v[52:53], v[52:53], v[56:57]
	;; [unrolled: 3-line block ×9, first 2 shown]
	scratch_load_b64 v[30:31], off, off     ; 8-byte Folded Reload
	s_waitcnt vmcnt(0)
	v_add_f64 v[30:31], v[28:29], v[30:31]
	scratch_load_b64 v[28:29], off, off offset:8 ; 8-byte Folded Reload
	s_waitcnt vmcnt(0)
	v_add_f64 v[28:29], v[32:33], v[28:29]
	v_and_b32_e32 v32, 0xffff, v71
	v_lshlrev_b32_e32 v33, 4, v251
	s_delay_alu instid0(VALU_DEP_2) | instskip(NEXT) | instid1(VALU_DEP_1)
	v_mul_u32_u24_e32 v32, 0x820, v32
	v_add3_u32 v32, 0, v32, v33
	ds_store_b128 v32, v[74:77] offset:320
	ds_store_b128 v32, v[90:93] offset:480
	;; [unrolled: 1-line block ×11, first 2 shown]
	ds_store_b128 v32, v[28:31]
	ds_store_b128 v32, v[16:19] offset:1920
.LBB0_17:
	s_or_b32 exec_lo, exec_lo, s1
	s_waitcnt lgkmcnt(0)
	s_barrier
	buffer_gl0_inv
	ds_load_b128 v[28:31], v250
	ds_load_b128 v[48:51], v250 offset:4160
	ds_load_b128 v[44:47], v250 offset:8320
	;; [unrolled: 1-line block ×6, first 2 shown]
	v_cmp_gt_u32_e64 s0, 0x4e, v70
                                        ; implicit-def: $vgpr2_vgpr3
	s_delay_alu instid0(VALU_DEP_1)
	s_and_saveexec_b32 s1, s0
	s_cbranch_execz .LBB0_19
; %bb.18:
	ds_load_b128 v[4:7], v250 offset:2912
	ds_load_b128 v[20:23], v250 offset:7072
	;; [unrolled: 1-line block ×7, first 2 shown]
.LBB0_19:
	s_or_b32 exec_lo, exec_lo, s1
	v_dual_mov_b32 v57, 0 :: v_dual_add_nc_u32 v56, 0xffffff7e, v70
	v_cmp_gt_u32_e64 s1, 0x82, v70
	s_mov_b32 s10, 0x37e14327
	s_mov_b32 s12, 0xe976ee23
	;; [unrolled: 1-line block ×4, first 2 shown]
	v_cndmask_b32_e64 v71, v56, v70, s1
	s_mov_b32 s4, 0x429ad128
	s_mov_b32 s5, 0x3febfeb5
	;; [unrolled: 1-line block ×4, first 2 shown]
	v_mul_i32_i24_e32 v56, 6, v71
	s_mov_b32 s14, 0xaaaaaaaa
	s_mov_b32 s22, 0xb247c609
	;; [unrolled: 1-line block ×4, first 2 shown]
	v_lshlrev_b64 v[58:59], 4, v[56:57]
	s_mov_b32 s23, 0x3fd5d0dc
	s_mov_b32 s17, 0x3fe77f67
	s_mov_b32 s21, 0xbfe77f67
	s_mov_b32 s25, 0xbfd5d0dc
	s_mov_b32 s20, s16
	v_add_co_u32 v66, s1, s8, v58
	s_delay_alu instid0(VALU_DEP_1)
	v_add_co_ci_u32_e64 v67, s1, s9, v59, s1
	s_mov_b32 s24, s22
	s_clause 0x5
	global_load_b128 v[58:61], v[66:67], off offset:1920
	global_load_b128 v[62:65], v[66:67], off offset:1936
	;; [unrolled: 1-line block ×6, first 2 shown]
	s_mov_b32 s26, 0x37c3f68c
	s_mov_b32 s27, 0x3fdc38aa
	v_cmp_lt_u32_e64 s1, 0x81, v70
	s_waitcnt vmcnt(0) lgkmcnt(0)
	s_barrier
	buffer_gl0_inv
	v_cndmask_b32_e64 v56, 0, 0x38e0, s1
	v_mul_f64 v[66:67], v[50:51], v[60:61]
	v_mul_f64 v[60:61], v[48:49], v[60:61]
	;; [unrolled: 1-line block ×12, first 2 shown]
	v_fma_f64 v[48:49], v[48:49], v[58:59], -v[66:67]
	v_fma_f64 v[50:51], v[50:51], v[58:59], v[60:61]
	v_fma_f64 v[44:45], v[44:45], v[62:63], -v[90:91]
	v_fma_f64 v[46:47], v[46:47], v[62:63], v[64:65]
	;; [unrolled: 2-line block ×6, first 2 shown]
	v_add_f64 v[58:59], v[48:49], v[52:53]
	v_add_f64 v[60:61], v[50:51], v[54:55]
	;; [unrolled: 1-line block ×4, first 2 shown]
	v_add_f64 v[40:41], v[44:45], -v[40:41]
	v_add_f64 v[42:43], v[46:47], -v[42:43]
	v_add_f64 v[44:45], v[36:37], v[32:33]
	v_add_f64 v[46:47], v[38:39], v[34:35]
	v_add_f64 v[32:33], v[32:33], -v[36:37]
	v_add_f64 v[34:35], v[34:35], -v[38:39]
	v_add_f64 v[36:37], v[48:49], -v[52:53]
	v_add_f64 v[38:39], v[50:51], -v[54:55]
	v_add_f64 v[48:49], v[62:63], v[58:59]
	v_add_f64 v[50:51], v[64:65], v[60:61]
	v_add_f64 v[52:53], v[58:59], -v[44:45]
	v_add_f64 v[54:55], v[60:61], -v[46:47]
	;; [unrolled: 1-line block ×6, first 2 shown]
	v_add_f64 v[40:41], v[32:33], v[40:41]
	v_add_f64 v[42:43], v[34:35], v[42:43]
	v_add_f64 v[32:33], v[36:37], -v[32:33]
	v_add_f64 v[34:35], v[38:39], -v[34:35]
	;; [unrolled: 1-line block ×4, first 2 shown]
	v_add_f64 v[48:49], v[44:45], v[48:49]
	v_add_f64 v[50:51], v[46:47], v[50:51]
	v_add_f64 v[44:45], v[44:45], -v[62:63]
	v_add_f64 v[46:47], v[46:47], -v[64:65]
	v_mul_f64 v[52:53], v[52:53], s[10:11]
	v_mul_f64 v[54:55], v[54:55], s[10:11]
	;; [unrolled: 1-line block ×6, first 2 shown]
	v_add_f64 v[36:37], v[40:41], v[36:37]
	v_add_f64 v[38:39], v[42:43], v[38:39]
	;; [unrolled: 1-line block ×4, first 2 shown]
	v_mul_f64 v[62:63], v[44:45], s[18:19]
	v_mul_f64 v[64:65], v[46:47], s[18:19]
	v_fma_f64 v[40:41], v[44:45], s[18:19], v[52:53]
	v_fma_f64 v[42:43], v[46:47], s[18:19], v[54:55]
	v_fma_f64 v[44:45], v[32:33], s[22:23], v[66:67]
	v_fma_f64 v[46:47], v[34:35], s[22:23], v[74:75]
	v_fma_f64 v[66:67], v[76:77], s[4:5], -v[66:67]
	v_fma_f64 v[74:75], v[78:79], s[4:5], -v[74:75]
	;; [unrolled: 1-line block ×6, first 2 shown]
	v_fma_f64 v[48:49], v[48:49], s[14:15], v[28:29]
	v_fma_f64 v[50:51], v[50:51], s[14:15], v[30:31]
	v_fma_f64 v[58:59], v[58:59], s[16:17], -v[62:63]
	v_fma_f64 v[60:61], v[60:61], s[16:17], -v[64:65]
	v_fma_f64 v[62:63], v[36:37], s[26:27], v[44:45]
	v_fma_f64 v[64:65], v[38:39], s[26:27], v[46:47]
	;; [unrolled: 1-line block ×6, first 2 shown]
	v_add_f64 v[76:77], v[40:41], v[48:49]
	v_add_f64 v[78:79], v[42:43], v[50:51]
	;; [unrolled: 1-line block ×6, first 2 shown]
	v_lshlrev_b32_e32 v58, 4, v71
	s_delay_alu instid0(VALU_DEP_1)
	v_add3_u32 v56, 0, v56, v58
	v_add_f64 v[32:33], v[64:65], v[76:77]
	v_add_f64 v[34:35], v[78:79], -v[62:63]
	v_add_f64 v[36:37], v[74:75], v[52:53]
	v_add_f64 v[38:39], v[54:55], -v[66:67]
	v_add_f64 v[40:41], v[48:49], -v[44:45]
	v_add_f64 v[42:43], v[46:47], v[50:51]
	v_add_f64 v[44:45], v[44:45], v[48:49]
	v_add_f64 v[46:47], v[50:51], -v[46:47]
	v_add_f64 v[48:49], v[52:53], -v[74:75]
	v_add_f64 v[50:51], v[66:67], v[54:55]
	v_add_f64 v[52:53], v[76:77], -v[64:65]
	v_add_f64 v[54:55], v[62:63], v[78:79]
	ds_store_b128 v56, v[28:31]
	ds_store_b128 v56, v[32:35] offset:2080
	ds_store_b128 v56, v[36:39] offset:4160
	ds_store_b128 v56, v[40:43] offset:6240
	ds_store_b128 v56, v[44:47] offset:8320
	ds_store_b128 v56, v[48:51] offset:10400
	ds_store_b128 v56, v[52:55] offset:12480
	s_and_saveexec_b32 s1, s0
	s_cbranch_execz .LBB0_21
; %bb.20:
	v_add_nc_u32_e32 v28, 0xb6, v70
	s_delay_alu instid0(VALU_DEP_1) | instskip(NEXT) | instid1(VALU_DEP_1)
	v_and_b32_e32 v29, 0xffff, v28
	v_mul_u32_u24_e32 v29, 0xfc1, v29
	s_delay_alu instid0(VALU_DEP_1) | instskip(NEXT) | instid1(VALU_DEP_1)
	v_lshrrev_b32_e32 v29, 19, v29
	v_mul_lo_u16 v29, 0x82, v29
	s_delay_alu instid0(VALU_DEP_1) | instskip(NEXT) | instid1(VALU_DEP_1)
	v_sub_nc_u16 v28, v28, v29
	v_and_b32_e32 v56, 0xffff, v28
	s_delay_alu instid0(VALU_DEP_1) | instskip(NEXT) | instid1(VALU_DEP_1)
	v_mul_u32_u24_e32 v28, 6, v56
	v_lshlrev_b32_e32 v48, 4, v28
	s_clause 0x5
	global_load_b128 v[28:31], v48, s[8:9] offset:1936
	global_load_b128 v[32:35], v48, s[8:9] offset:1984
	;; [unrolled: 1-line block ×6, first 2 shown]
	s_waitcnt vmcnt(5)
	v_mul_f64 v[52:53], v[24:25], v[30:31]
	s_waitcnt vmcnt(4)
	v_mul_f64 v[54:55], v[16:17], v[34:35]
	;; [unrolled: 2-line block ×4, first 2 shown]
	v_mul_f64 v[30:31], v[26:27], v[30:31]
	v_mul_f64 v[34:35], v[18:19], v[34:35]
	;; [unrolled: 1-line block ×4, first 2 shown]
	s_waitcnt vmcnt(1)
	v_mul_f64 v[62:63], v[10:11], v[46:47]
	s_waitcnt vmcnt(0)
	v_mul_f64 v[64:65], v[14:15], v[50:51]
	v_mul_f64 v[50:51], v[12:13], v[50:51]
	;; [unrolled: 1-line block ×3, first 2 shown]
	v_fma_f64 v[26:27], v[26:27], v[28:29], v[52:53]
	v_fma_f64 v[18:19], v[18:19], v[32:33], v[54:55]
	;; [unrolled: 1-line block ×4, first 2 shown]
	v_fma_f64 v[24:25], v[24:25], v[28:29], -v[30:31]
	v_fma_f64 v[16:17], v[16:17], v[32:33], -v[34:35]
	;; [unrolled: 1-line block ×6, first 2 shown]
	v_fma_f64 v[14:15], v[14:15], v[48:49], v[50:51]
	v_fma_f64 v[10:11], v[10:11], v[44:45], v[46:47]
	v_add_f64 v[28:29], v[26:27], v[18:19]
	v_add_f64 v[30:31], v[22:23], v[2:3]
	;; [unrolled: 1-line block ×3, first 2 shown]
	v_add_f64 v[16:17], v[24:25], -v[16:17]
	v_add_f64 v[34:35], v[20:21], v[0:1]
	v_add_f64 v[36:37], v[8:9], -v[12:13]
	v_add_f64 v[8:9], v[12:13], v[8:9]
	v_add_f64 v[24:25], v[14:15], v[10:11]
	v_add_f64 v[12:13], v[20:21], -v[0:1]
	v_add_f64 v[10:11], v[10:11], -v[14:15]
	;; [unrolled: 1-line block ×4, first 2 shown]
	v_add_f64 v[0:1], v[28:29], v[30:31]
	v_add_f64 v[2:3], v[32:33], v[34:35]
	v_add_f64 v[20:21], v[36:37], -v[16:17]
	v_add_f64 v[26:27], v[34:35], -v[8:9]
	;; [unrolled: 1-line block ×4, first 2 shown]
	v_add_f64 v[16:17], v[36:37], v[16:17]
	v_add_f64 v[36:37], v[12:13], -v[36:37]
	v_add_f64 v[42:43], v[14:15], -v[18:19]
	v_add_f64 v[40:41], v[24:25], v[0:1]
	v_add_f64 v[24:25], v[24:25], -v[28:29]
	v_add_f64 v[0:1], v[10:11], -v[14:15]
	v_add_f64 v[14:15], v[10:11], v[14:15]
	v_add_f64 v[44:45], v[8:9], v[2:3]
	v_add_f64 v[8:9], v[8:9], -v[32:33]
	v_mul_f64 v[20:21], v[20:21], s[12:13]
	v_mul_f64 v[26:27], v[26:27], s[10:11]
	;; [unrolled: 1-line block ×4, first 2 shown]
	v_add_f64 v[10:11], v[18:19], -v[10:11]
	v_add_f64 v[12:13], v[16:17], v[12:13]
	v_mul_f64 v[48:49], v[42:43], s[4:5]
	v_add_f64 v[2:3], v[6:7], v[40:41]
	v_add_f64 v[6:7], v[28:29], -v[30:31]
	v_mul_f64 v[28:29], v[24:25], s[18:19]
	v_mul_f64 v[30:31], v[0:1], s[12:13]
	v_add_f64 v[0:1], v[4:5], v[44:45]
	v_add_f64 v[4:5], v[32:33], -v[34:35]
	v_mul_f64 v[32:33], v[8:9], s[18:19]
	v_add_f64 v[14:15], v[14:15], v[18:19]
	v_fma_f64 v[16:17], v[36:37], s[22:23], v[20:21]
	v_fma_f64 v[18:19], v[24:25], s[18:19], v[22:23]
	;; [unrolled: 1-line block ×3, first 2 shown]
	v_fma_f64 v[24:25], v[36:37], s[24:25], -v[46:47]
	v_fma_f64 v[20:21], v[38:39], s[4:5], -v[20:21]
	v_fma_f64 v[34:35], v[40:41], s[14:15], v[2:3]
	v_fma_f64 v[22:23], v[6:7], s[20:21], -v[22:23]
	v_fma_f64 v[6:7], v[6:7], s[16:17], -v[28:29]
	v_fma_f64 v[28:29], v[10:11], s[22:23], v[30:31]
	v_fma_f64 v[36:37], v[44:45], s[14:15], v[0:1]
	v_fma_f64 v[10:11], v[10:11], s[24:25], -v[48:49]
	v_fma_f64 v[26:27], v[4:5], s[20:21], -v[26:27]
	;; [unrolled: 1-line block ×4, first 2 shown]
	v_fma_f64 v[16:17], v[12:13], s[26:27], v[16:17]
	v_fma_f64 v[24:25], v[12:13], s[26:27], v[24:25]
	;; [unrolled: 1-line block ×3, first 2 shown]
	v_add_f64 v[20:21], v[18:19], v[34:35]
	v_add_f64 v[22:23], v[22:23], v[34:35]
	;; [unrolled: 1-line block ×3, first 2 shown]
	v_fma_f64 v[28:29], v[14:15], s[26:27], v[28:29]
	v_add_f64 v[34:35], v[8:9], v[36:37]
	v_fma_f64 v[32:33], v[14:15], s[26:27], v[10:11]
	v_add_f64 v[8:9], v[26:27], v[36:37]
	;; [unrolled: 2-line block ×3, first 2 shown]
	v_add_f64 v[26:27], v[20:21], -v[16:17]
	v_add_f64 v[10:11], v[24:25], v[22:23]
	v_add_f64 v[22:23], v[22:23], -v[24:25]
	v_add_f64 v[6:7], v[16:17], v[20:21]
	v_add_f64 v[24:25], v[28:29], v[34:35]
	v_add_f64 v[14:15], v[18:19], -v[12:13]
	v_add_f64 v[20:21], v[32:33], v[8:9]
	;; [unrolled: 3-line block ×3, first 2 shown]
	v_add_f64 v[8:9], v[8:9], -v[32:33]
	v_add_f64 v[4:5], v[34:35], -v[28:29]
	v_lshl_add_u32 v28, v56, 4, 0
	ds_store_b128 v28, v[0:3] offset:14560
	ds_store_b128 v28, v[24:27] offset:16640
	;; [unrolled: 1-line block ×7, first 2 shown]
.LBB0_21:
	s_or_b32 exec_lo, exec_lo, s1
	v_mov_b32_e32 v71, v57
	s_waitcnt lgkmcnt(0)
	s_barrier
	buffer_gl0_inv
	s_add_u32 s1, s8, 0x7120
	v_lshlrev_b64 v[8:9], 4, v[70:71]
	s_addc_u32 s4, s9, 0
	s_mov_b32 s5, exec_lo
	s_delay_alu instid0(VALU_DEP_1) | instskip(NEXT) | instid1(VALU_DEP_1)
	v_add_co_u32 v12, s0, s8, v8
	v_add_co_ci_u32_e64 v13, s0, s9, v9, s0
	s_delay_alu instid0(VALU_DEP_2) | instskip(NEXT) | instid1(VALU_DEP_1)
	v_add_co_u32 v0, s0, 0x3000, v12
	v_add_co_ci_u32_e64 v1, s0, 0, v13, s0
	v_add_co_u32 v10, s0, 0x4000, v12
	s_delay_alu instid0(VALU_DEP_1) | instskip(SKIP_1) | instid1(VALU_DEP_1)
	v_add_co_ci_u32_e64 v11, s0, 0, v13, s0
	v_add_co_u32 v14, s0, 0x5000, v12
	v_add_co_ci_u32_e64 v15, s0, 0, v13, s0
	v_add_co_u32 v18, s0, 0x6000, v12
	s_clause 0x1
	global_load_b128 v[0:3], v[0:1], off offset:2112
	global_load_b128 v[4:7], v[10:11], off offset:928
	v_add_co_ci_u32_e64 v19, s0, 0, v13, s0
	s_clause 0x2
	global_load_b128 v[10:13], v[10:11], off offset:3840
	global_load_b128 v[14:17], v[14:15], off offset:2656
	;; [unrolled: 1-line block ×3, first 2 shown]
	ds_load_b128 v[22:25], v250 offset:14560
	ds_load_b128 v[26:29], v250 offset:17472
	;; [unrolled: 1-line block ×6, first 2 shown]
	s_waitcnt vmcnt(4) lgkmcnt(5)
	v_mul_f64 v[46:47], v[24:25], v[2:3]
	v_mul_f64 v[2:3], v[22:23], v[2:3]
	s_waitcnt vmcnt(3) lgkmcnt(4)
	v_mul_f64 v[48:49], v[28:29], v[6:7]
	v_mul_f64 v[6:7], v[26:27], v[6:7]
	;; [unrolled: 3-line block ×5, first 2 shown]
	v_fma_f64 v[22:23], v[22:23], v[0:1], -v[46:47]
	v_fma_f64 v[24:25], v[24:25], v[0:1], v[2:3]
	v_fma_f64 v[26:27], v[26:27], v[4:5], -v[48:49]
	v_fma_f64 v[28:29], v[28:29], v[4:5], v[6:7]
	;; [unrolled: 2-line block ×5, first 2 shown]
	ds_load_b128 v[0:3], v250
	ds_load_b128 v[4:7], v250 offset:2912
	ds_load_b128 v[10:13], v250 offset:5824
	ds_load_b128 v[14:17], v250 offset:8736
	s_waitcnt lgkmcnt(0)
	s_barrier
	buffer_gl0_inv
	v_add_f64 v[18:19], v[0:1], -v[22:23]
	v_add_f64 v[20:21], v[2:3], -v[24:25]
	;; [unrolled: 1-line block ×10, first 2 shown]
	v_fma_f64 v[0:1], v[0:1], 2.0, -v[18:19]
	v_fma_f64 v[2:3], v[2:3], 2.0, -v[20:21]
	;; [unrolled: 1-line block ×10, first 2 shown]
	ds_store_b128 v250, v[22:25] offset:17472
	ds_store_b128 v250, v[26:29] offset:20384
	;; [unrolled: 1-line block ×4, first 2 shown]
	ds_store_b128 v250, v[0:3]
	ds_store_b128 v250, v[4:7] offset:2912
	ds_store_b128 v250, v[10:13] offset:5824
	;; [unrolled: 1-line block ×5, first 2 shown]
	v_lshlrev_b32_e32 v0, 4, v70
	s_waitcnt lgkmcnt(0)
	s_barrier
	buffer_gl0_inv
	ds_load_b128 v[4:7], v250
	v_sub_nc_u32_e32 v14, 0, v0
                                        ; implicit-def: $vgpr0_vgpr1
                                        ; implicit-def: $vgpr10_vgpr11
                                        ; implicit-def: $vgpr12_vgpr13
	v_cmpx_ne_u32_e32 0, v70
	s_xor_b32 s5, exec_lo, s5
	s_cbranch_execz .LBB0_23
; %bb.22:
	v_add_co_u32 v0, s0, s1, v8
	s_delay_alu instid0(VALU_DEP_1)
	v_add_co_ci_u32_e64 v1, s0, s4, v9, s0
	global_load_b128 v[15:18], v[0:1], off
	ds_load_b128 v[0:3], v14 offset:29120
	s_waitcnt lgkmcnt(0)
	v_add_f64 v[10:11], v[4:5], -v[0:1]
	v_add_f64 v[12:13], v[6:7], v[2:3]
	v_add_f64 v[2:3], v[6:7], -v[2:3]
	v_add_f64 v[0:1], v[4:5], v[0:1]
	s_delay_alu instid0(VALU_DEP_4) | instskip(NEXT) | instid1(VALU_DEP_4)
	v_mul_f64 v[6:7], v[10:11], 0.5
	v_mul_f64 v[4:5], v[12:13], 0.5
	s_delay_alu instid0(VALU_DEP_4) | instskip(SKIP_1) | instid1(VALU_DEP_3)
	v_mul_f64 v[2:3], v[2:3], 0.5
	s_waitcnt vmcnt(0)
	v_mul_f64 v[10:11], v[6:7], v[17:18]
	s_delay_alu instid0(VALU_DEP_2) | instskip(SKIP_1) | instid1(VALU_DEP_3)
	v_fma_f64 v[12:13], v[4:5], v[17:18], v[2:3]
	v_fma_f64 v[2:3], v[4:5], v[17:18], -v[2:3]
	v_fma_f64 v[19:20], v[0:1], 0.5, v[10:11]
	v_fma_f64 v[0:1], v[0:1], 0.5, -v[10:11]
	s_delay_alu instid0(VALU_DEP_4) | instskip(NEXT) | instid1(VALU_DEP_4)
	v_fma_f64 v[12:13], -v[15:16], v[6:7], v[12:13]
	v_fma_f64 v[2:3], -v[15:16], v[6:7], v[2:3]
	s_delay_alu instid0(VALU_DEP_4) | instskip(NEXT) | instid1(VALU_DEP_4)
	v_fma_f64 v[10:11], v[4:5], v[15:16], v[19:20]
	v_fma_f64 v[0:1], -v[4:5], v[15:16], v[0:1]
                                        ; implicit-def: $vgpr4_vgpr5
.LBB0_23:
	s_and_not1_saveexec_b32 s0, s5
	s_cbranch_execz .LBB0_25
; %bb.24:
	s_waitcnt lgkmcnt(0)
	v_add_f64 v[10:11], v[4:5], v[6:7]
	v_add_f64 v[0:1], v[4:5], -v[6:7]
	v_mov_b32_e32 v6, 0
	v_mov_b32_e32 v12, 0
	;; [unrolled: 1-line block ×3, first 2 shown]
	s_delay_alu instid0(VALU_DEP_2)
	v_mov_b32_e32 v2, v12
	ds_load_b64 v[4:5], v6 offset:14568
	v_mov_b32_e32 v3, v13
	s_waitcnt lgkmcnt(0)
	v_xor_b32_e32 v5, 0x80000000, v5
	ds_store_b64 v6, v[4:5] offset:14568
.LBB0_25:
	s_or_b32 exec_lo, exec_lo, s0
	v_add_co_u32 v19, s0, s1, v8
	s_delay_alu instid0(VALU_DEP_1) | instskip(NEXT) | instid1(VALU_DEP_2)
	v_add_co_ci_u32_e64 v20, s0, s4, v9, s0
	v_add_co_u32 v8, s0, 0x1000, v19
	s_waitcnt lgkmcnt(0)
	global_load_b128 v[4:7], v[19:20], off offset:2912
	v_add_co_ci_u32_e64 v9, s0, 0, v20, s0
	global_load_b128 v[15:18], v[8:9], off offset:1728
	ds_store_2addr_b64 v250, v[10:11], v[12:13] offset1:1
	ds_store_b128 v14, v[0:3] offset:29120
	ds_load_b128 v[0:3], v250 offset:2912
	ds_load_b128 v[8:11], v14 offset:26208
	s_waitcnt lgkmcnt(0)
	v_add_f64 v[12:13], v[0:1], -v[8:9]
	v_add_f64 v[21:22], v[2:3], v[10:11]
	v_add_f64 v[2:3], v[2:3], -v[10:11]
	v_add_f64 v[0:1], v[0:1], v[8:9]
	s_delay_alu instid0(VALU_DEP_4) | instskip(NEXT) | instid1(VALU_DEP_4)
	v_mul_f64 v[10:11], v[12:13], 0.5
	v_mul_f64 v[12:13], v[21:22], 0.5
	s_delay_alu instid0(VALU_DEP_4) | instskip(SKIP_1) | instid1(VALU_DEP_3)
	v_mul_f64 v[2:3], v[2:3], 0.5
	s_waitcnt vmcnt(1)
	v_mul_f64 v[8:9], v[10:11], v[6:7]
	s_delay_alu instid0(VALU_DEP_2) | instskip(SKIP_1) | instid1(VALU_DEP_3)
	v_fma_f64 v[21:22], v[12:13], v[6:7], v[2:3]
	v_fma_f64 v[2:3], v[12:13], v[6:7], -v[2:3]
	v_fma_f64 v[6:7], v[0:1], 0.5, v[8:9]
	v_fma_f64 v[0:1], v[0:1], 0.5, -v[8:9]
	s_delay_alu instid0(VALU_DEP_4) | instskip(NEXT) | instid1(VALU_DEP_4)
	v_fma_f64 v[8:9], -v[4:5], v[10:11], v[21:22]
	v_fma_f64 v[2:3], -v[4:5], v[10:11], v[2:3]
	s_delay_alu instid0(VALU_DEP_4) | instskip(NEXT) | instid1(VALU_DEP_4)
	v_fma_f64 v[10:11], v[12:13], v[4:5], v[6:7]
	v_fma_f64 v[0:1], -v[12:13], v[4:5], v[0:1]
	v_add_co_u32 v12, s0, 0x2000, v19
	s_delay_alu instid0(VALU_DEP_1)
	v_add_co_ci_u32_e64 v13, s0, 0, v20, s0
	v_add_nc_u32_e32 v19, 0x800, v250
	global_load_b128 v[4:7], v[12:13], off offset:544
	ds_store_2addr_b64 v19, v[10:11], v[8:9] offset0:108 offset1:109
	ds_store_b128 v14, v[0:3] offset:26208
	ds_load_b128 v[0:3], v250 offset:5824
	ds_load_b128 v[8:11], v14 offset:23296
	s_waitcnt lgkmcnt(0)
	v_add_f64 v[19:20], v[0:1], -v[8:9]
	v_add_f64 v[21:22], v[2:3], v[10:11]
	v_add_f64 v[2:3], v[2:3], -v[10:11]
	v_add_f64 v[0:1], v[0:1], v[8:9]
	s_delay_alu instid0(VALU_DEP_4) | instskip(NEXT) | instid1(VALU_DEP_4)
	v_mul_f64 v[10:11], v[19:20], 0.5
	v_mul_f64 v[19:20], v[21:22], 0.5
	s_delay_alu instid0(VALU_DEP_4) | instskip(SKIP_1) | instid1(VALU_DEP_3)
	v_mul_f64 v[2:3], v[2:3], 0.5
	s_waitcnt vmcnt(1)
	v_mul_f64 v[8:9], v[10:11], v[17:18]
	s_delay_alu instid0(VALU_DEP_2) | instskip(SKIP_1) | instid1(VALU_DEP_3)
	v_fma_f64 v[21:22], v[19:20], v[17:18], v[2:3]
	v_fma_f64 v[2:3], v[19:20], v[17:18], -v[2:3]
	v_fma_f64 v[17:18], v[0:1], 0.5, v[8:9]
	v_fma_f64 v[0:1], v[0:1], 0.5, -v[8:9]
	s_delay_alu instid0(VALU_DEP_4) | instskip(NEXT) | instid1(VALU_DEP_4)
	v_fma_f64 v[21:22], -v[15:16], v[10:11], v[21:22]
	v_fma_f64 v[2:3], -v[15:16], v[10:11], v[2:3]
	global_load_b128 v[8:11], v[12:13], off offset:3456
	v_add_nc_u32_e32 v12, 0x1000, v250
	v_fma_f64 v[17:18], v[19:20], v[15:16], v[17:18]
	v_fma_f64 v[0:1], -v[19:20], v[15:16], v[0:1]
	ds_store_2addr_b64 v12, v[17:18], v[21:22] offset0:216 offset1:217
	ds_store_b128 v14, v[0:3] offset:23296
	ds_load_b128 v[0:3], v250 offset:8736
	ds_load_b128 v[15:18], v14 offset:20384
	s_waitcnt lgkmcnt(0)
	v_add_f64 v[12:13], v[0:1], -v[15:16]
	v_add_f64 v[19:20], v[2:3], v[17:18]
	v_add_f64 v[2:3], v[2:3], -v[17:18]
	v_add_f64 v[0:1], v[0:1], v[15:16]
	s_delay_alu instid0(VALU_DEP_4) | instskip(NEXT) | instid1(VALU_DEP_4)
	v_mul_f64 v[12:13], v[12:13], 0.5
	v_mul_f64 v[17:18], v[19:20], 0.5
	s_delay_alu instid0(VALU_DEP_4) | instskip(SKIP_1) | instid1(VALU_DEP_3)
	v_mul_f64 v[2:3], v[2:3], 0.5
	s_waitcnt vmcnt(1)
	v_mul_f64 v[15:16], v[12:13], v[6:7]
	s_delay_alu instid0(VALU_DEP_2) | instskip(SKIP_1) | instid1(VALU_DEP_3)
	v_fma_f64 v[19:20], v[17:18], v[6:7], v[2:3]
	v_fma_f64 v[2:3], v[17:18], v[6:7], -v[2:3]
	v_fma_f64 v[6:7], v[0:1], 0.5, v[15:16]
	v_fma_f64 v[0:1], v[0:1], 0.5, -v[15:16]
	s_delay_alu instid0(VALU_DEP_4) | instskip(NEXT) | instid1(VALU_DEP_4)
	v_fma_f64 v[15:16], -v[4:5], v[12:13], v[19:20]
	v_fma_f64 v[2:3], -v[4:5], v[12:13], v[2:3]
	s_delay_alu instid0(VALU_DEP_4) | instskip(NEXT) | instid1(VALU_DEP_4)
	v_fma_f64 v[6:7], v[17:18], v[4:5], v[6:7]
	v_fma_f64 v[0:1], -v[17:18], v[4:5], v[0:1]
	v_add_nc_u32_e32 v4, 0x2000, v250
	ds_store_2addr_b64 v4, v[6:7], v[15:16] offset0:68 offset1:69
	ds_store_b128 v14, v[0:3] offset:20384
	ds_load_b128 v[0:3], v250 offset:11648
	ds_load_b128 v[4:7], v14 offset:17472
	s_waitcnt lgkmcnt(0)
	v_add_f64 v[12:13], v[0:1], -v[4:5]
	v_add_f64 v[15:16], v[2:3], v[6:7]
	v_add_f64 v[2:3], v[2:3], -v[6:7]
	v_add_f64 v[0:1], v[0:1], v[4:5]
	s_delay_alu instid0(VALU_DEP_4) | instskip(NEXT) | instid1(VALU_DEP_4)
	v_mul_f64 v[6:7], v[12:13], 0.5
	v_mul_f64 v[12:13], v[15:16], 0.5
	s_delay_alu instid0(VALU_DEP_4) | instskip(SKIP_1) | instid1(VALU_DEP_3)
	v_mul_f64 v[2:3], v[2:3], 0.5
	s_waitcnt vmcnt(0)
	v_mul_f64 v[4:5], v[6:7], v[10:11]
	s_delay_alu instid0(VALU_DEP_2) | instskip(SKIP_1) | instid1(VALU_DEP_3)
	v_fma_f64 v[15:16], v[12:13], v[10:11], v[2:3]
	v_fma_f64 v[2:3], v[12:13], v[10:11], -v[2:3]
	v_fma_f64 v[10:11], v[0:1], 0.5, v[4:5]
	v_fma_f64 v[0:1], v[0:1], 0.5, -v[4:5]
	s_delay_alu instid0(VALU_DEP_4) | instskip(NEXT) | instid1(VALU_DEP_4)
	v_fma_f64 v[4:5], -v[8:9], v[6:7], v[15:16]
	v_fma_f64 v[2:3], -v[8:9], v[6:7], v[2:3]
	s_delay_alu instid0(VALU_DEP_4) | instskip(NEXT) | instid1(VALU_DEP_4)
	v_fma_f64 v[6:7], v[12:13], v[8:9], v[10:11]
	v_fma_f64 v[0:1], -v[12:13], v[8:9], v[0:1]
	v_add_nc_u32_e32 v8, 0x2800, v250
	ds_store_2addr_b64 v8, v[6:7], v[4:5] offset0:176 offset1:177
	ds_store_b128 v14, v[0:3] offset:17472
	s_waitcnt lgkmcnt(0)
	s_barrier
	buffer_gl0_inv
	s_and_saveexec_b32 s0, vcc_lo
	s_cbranch_execz .LBB0_28
; %bb.26:
	v_mul_lo_u32 v2, s3, v72
	v_mul_lo_u32 v3, s2, v73
	v_mad_u64_u32 v[0:1], null, s2, v72, 0
	v_lshl_add_u32 v28, v70, 4, 0
	v_dual_mov_b32 v71, 0 :: v_dual_add_nc_u32 v12, 0xb6, v70
	v_lshlrev_b64 v[10:11], 4, v[68:69]
	v_add_nc_u32_e32 v26, 0x444, v70
	v_add_nc_u32_e32 v24, 0x38e, v70
	v_add3_u32 v1, v1, v3, v2
	ds_load_b128 v[2:5], v28
	ds_load_b128 v[6:9], v28 offset:2912
	v_mov_b32_e32 v13, v71
	v_lshlrev_b64 v[14:15], 4, v[70:71]
	v_mov_b32_e32 v25, v71
	v_lshlrev_b64 v[0:1], 4, v[0:1]
	v_mov_b32_e32 v27, v71
	s_delay_alu instid0(VALU_DEP_3) | instskip(NEXT) | instid1(VALU_DEP_3)
	v_lshlrev_b64 v[24:25], 4, v[24:25]
	v_add_co_u32 v0, vcc_lo, s6, v0
	s_delay_alu instid0(VALU_DEP_4) | instskip(NEXT) | instid1(VALU_DEP_2)
	v_add_co_ci_u32_e32 v1, vcc_lo, s7, v1, vcc_lo
	v_add_co_u32 v0, vcc_lo, v0, v10
	s_delay_alu instid0(VALU_DEP_2) | instskip(SKIP_1) | instid1(VALU_DEP_3)
	v_add_co_ci_u32_e32 v1, vcc_lo, v1, v11, vcc_lo
	v_lshlrev_b64 v[10:11], 4, v[12:13]
	v_add_co_u32 v12, vcc_lo, v0, v14
	s_delay_alu instid0(VALU_DEP_3) | instskip(SKIP_1) | instid1(VALU_DEP_4)
	v_add_co_ci_u32_e32 v13, vcc_lo, v1, v15, vcc_lo
	v_add_nc_u32_e32 v14, 0x16c, v70
	v_add_co_u32 v10, vcc_lo, v0, v10
	v_mov_b32_e32 v15, v71
	v_add_co_ci_u32_e32 v11, vcc_lo, v1, v11, vcc_lo
	s_waitcnt lgkmcnt(1)
	global_store_b128 v[12:13], v[2:5], off
	s_waitcnt lgkmcnt(0)
	global_store_b128 v[10:11], v[6:9], off
	v_add_nc_u32_e32 v10, 0x222, v70
	v_lshlrev_b64 v[2:3], 4, v[14:15]
	v_dual_mov_b32 v11, v71 :: v_dual_add_nc_u32 v12, 0x2d8, v70
	v_mov_b32_e32 v13, v71
	s_delay_alu instid0(VALU_DEP_3) | instskip(NEXT) | instid1(VALU_DEP_4)
	v_add_co_u32 v18, vcc_lo, v0, v2
	v_add_co_ci_u32_e32 v19, vcc_lo, v1, v3, vcc_lo
	ds_load_b128 v[2:5], v28 offset:5824
	ds_load_b128 v[6:9], v28 offset:8736
	v_lshlrev_b64 v[20:21], 4, v[10:11]
	v_lshlrev_b64 v[22:23], 4, v[12:13]
	ds_load_b128 v[10:13], v28 offset:11648
	ds_load_b128 v[14:17], v28 offset:14560
	v_add_co_u32 v20, vcc_lo, v0, v20
	v_add_co_ci_u32_e32 v21, vcc_lo, v1, v21, vcc_lo
	v_add_co_u32 v22, vcc_lo, v0, v22
	v_add_co_ci_u32_e32 v23, vcc_lo, v1, v23, vcc_lo
	;; [unrolled: 2-line block ×3, first 2 shown]
	s_waitcnt lgkmcnt(3)
	global_store_b128 v[18:19], v[2:5], off
	s_waitcnt lgkmcnt(2)
	global_store_b128 v[20:21], v[6:9], off
	;; [unrolled: 2-line block ×4, first 2 shown]
	v_add_nc_u32_e32 v10, 0x4fa, v70
	v_lshlrev_b64 v[2:3], 4, v[26:27]
	v_dual_mov_b32 v11, v71 :: v_dual_add_nc_u32 v12, 0x5b0, v70
	v_dual_mov_b32 v13, v71 :: v_dual_add_nc_u32 v24, 0x666, v70
	v_mov_b32_e32 v25, v71
	s_delay_alu instid0(VALU_DEP_4)
	v_add_co_u32 v18, vcc_lo, v0, v2
	v_add_co_ci_u32_e32 v19, vcc_lo, v1, v3, vcc_lo
	ds_load_b128 v[2:5], v28 offset:17472
	ds_load_b128 v[6:9], v28 offset:20384
	v_lshlrev_b64 v[20:21], 4, v[10:11]
	v_lshlrev_b64 v[22:23], 4, v[12:13]
	ds_load_b128 v[10:13], v28 offset:23296
	ds_load_b128 v[14:17], v28 offset:26208
	v_lshlrev_b64 v[24:25], 4, v[24:25]
	v_add_co_u32 v20, vcc_lo, v0, v20
	v_add_co_ci_u32_e32 v21, vcc_lo, v1, v21, vcc_lo
	v_add_co_u32 v22, vcc_lo, v0, v22
	v_add_co_ci_u32_e32 v23, vcc_lo, v1, v23, vcc_lo
	;; [unrolled: 2-line block ×3, first 2 shown]
	v_cmp_eq_u32_e32 vcc_lo, 0xb5, v70
	s_waitcnt lgkmcnt(3)
	global_store_b128 v[18:19], v[2:5], off
	s_waitcnt lgkmcnt(2)
	global_store_b128 v[20:21], v[6:9], off
	;; [unrolled: 2-line block ×4, first 2 shown]
	s_and_b32 exec_lo, exec_lo, vcc_lo
	s_cbranch_execz .LBB0_28
; %bb.27:
	ds_load_b128 v[2:5], v71 offset:29120
	v_add_co_u32 v0, vcc_lo, 0x7000, v0
	v_add_co_ci_u32_e32 v1, vcc_lo, 0, v1, vcc_lo
	s_waitcnt lgkmcnt(0)
	global_store_b128 v[0:1], v[2:5], off offset:448
.LBB0_28:
	s_nop 0
	s_sendmsg sendmsg(MSG_DEALLOC_VGPRS)
	s_endpgm
	.section	.rodata,"a",@progbits
	.p2align	6, 0x0
	.amdhsa_kernel fft_rtc_fwd_len1820_factors_10_13_7_2_wgs_182_tpt_182_halfLds_dp_op_CI_CI_unitstride_sbrr_R2C_dirReg
		.amdhsa_group_segment_fixed_size 0
		.amdhsa_private_segment_fixed_size 36
		.amdhsa_kernarg_size 104
		.amdhsa_user_sgpr_count 15
		.amdhsa_user_sgpr_dispatch_ptr 0
		.amdhsa_user_sgpr_queue_ptr 0
		.amdhsa_user_sgpr_kernarg_segment_ptr 1
		.amdhsa_user_sgpr_dispatch_id 0
		.amdhsa_user_sgpr_private_segment_size 0
		.amdhsa_wavefront_size32 1
		.amdhsa_uses_dynamic_stack 0
		.amdhsa_enable_private_segment 1
		.amdhsa_system_sgpr_workgroup_id_x 1
		.amdhsa_system_sgpr_workgroup_id_y 0
		.amdhsa_system_sgpr_workgroup_id_z 0
		.amdhsa_system_sgpr_workgroup_info 0
		.amdhsa_system_vgpr_workitem_id 0
		.amdhsa_next_free_vgpr 256
		.amdhsa_next_free_sgpr 36
		.amdhsa_reserve_vcc 1
		.amdhsa_float_round_mode_32 0
		.amdhsa_float_round_mode_16_64 0
		.amdhsa_float_denorm_mode_32 3
		.amdhsa_float_denorm_mode_16_64 3
		.amdhsa_dx10_clamp 1
		.amdhsa_ieee_mode 1
		.amdhsa_fp16_overflow 0
		.amdhsa_workgroup_processor_mode 1
		.amdhsa_memory_ordered 1
		.amdhsa_forward_progress 0
		.amdhsa_shared_vgpr_count 0
		.amdhsa_exception_fp_ieee_invalid_op 0
		.amdhsa_exception_fp_denorm_src 0
		.amdhsa_exception_fp_ieee_div_zero 0
		.amdhsa_exception_fp_ieee_overflow 0
		.amdhsa_exception_fp_ieee_underflow 0
		.amdhsa_exception_fp_ieee_inexact 0
		.amdhsa_exception_int_div_zero 0
	.end_amdhsa_kernel
	.text
.Lfunc_end0:
	.size	fft_rtc_fwd_len1820_factors_10_13_7_2_wgs_182_tpt_182_halfLds_dp_op_CI_CI_unitstride_sbrr_R2C_dirReg, .Lfunc_end0-fft_rtc_fwd_len1820_factors_10_13_7_2_wgs_182_tpt_182_halfLds_dp_op_CI_CI_unitstride_sbrr_R2C_dirReg
                                        ; -- End function
	.section	.AMDGPU.csdata,"",@progbits
; Kernel info:
; codeLenInByte = 13696
; NumSgprs: 38
; NumVgprs: 256
; ScratchSize: 36
; MemoryBound: 0
; FloatMode: 240
; IeeeMode: 1
; LDSByteSize: 0 bytes/workgroup (compile time only)
; SGPRBlocks: 4
; VGPRBlocks: 31
; NumSGPRsForWavesPerEU: 38
; NumVGPRsForWavesPerEU: 256
; Occupancy: 5
; WaveLimiterHint : 1
; COMPUTE_PGM_RSRC2:SCRATCH_EN: 1
; COMPUTE_PGM_RSRC2:USER_SGPR: 15
; COMPUTE_PGM_RSRC2:TRAP_HANDLER: 0
; COMPUTE_PGM_RSRC2:TGID_X_EN: 1
; COMPUTE_PGM_RSRC2:TGID_Y_EN: 0
; COMPUTE_PGM_RSRC2:TGID_Z_EN: 0
; COMPUTE_PGM_RSRC2:TIDIG_COMP_CNT: 0
	.text
	.p2alignl 7, 3214868480
	.fill 96, 4, 3214868480
	.type	__hip_cuid_a33a08ee013a4e18,@object ; @__hip_cuid_a33a08ee013a4e18
	.section	.bss,"aw",@nobits
	.globl	__hip_cuid_a33a08ee013a4e18
__hip_cuid_a33a08ee013a4e18:
	.byte	0                               ; 0x0
	.size	__hip_cuid_a33a08ee013a4e18, 1

	.ident	"AMD clang version 19.0.0git (https://github.com/RadeonOpenCompute/llvm-project roc-6.4.0 25133 c7fe45cf4b819c5991fe208aaa96edf142730f1d)"
	.section	".note.GNU-stack","",@progbits
	.addrsig
	.addrsig_sym __hip_cuid_a33a08ee013a4e18
	.amdgpu_metadata
---
amdhsa.kernels:
  - .args:
      - .actual_access:  read_only
        .address_space:  global
        .offset:         0
        .size:           8
        .value_kind:     global_buffer
      - .offset:         8
        .size:           8
        .value_kind:     by_value
      - .actual_access:  read_only
        .address_space:  global
        .offset:         16
        .size:           8
        .value_kind:     global_buffer
      - .actual_access:  read_only
        .address_space:  global
        .offset:         24
        .size:           8
        .value_kind:     global_buffer
      - .actual_access:  read_only
        .address_space:  global
        .offset:         32
        .size:           8
        .value_kind:     global_buffer
      - .offset:         40
        .size:           8
        .value_kind:     by_value
      - .actual_access:  read_only
        .address_space:  global
        .offset:         48
        .size:           8
        .value_kind:     global_buffer
      - .actual_access:  read_only
        .address_space:  global
        .offset:         56
        .size:           8
        .value_kind:     global_buffer
      - .offset:         64
        .size:           4
        .value_kind:     by_value
      - .actual_access:  read_only
        .address_space:  global
        .offset:         72
        .size:           8
        .value_kind:     global_buffer
      - .actual_access:  read_only
        .address_space:  global
        .offset:         80
        .size:           8
        .value_kind:     global_buffer
      - .actual_access:  read_only
        .address_space:  global
        .offset:         88
        .size:           8
        .value_kind:     global_buffer
      - .actual_access:  write_only
        .address_space:  global
        .offset:         96
        .size:           8
        .value_kind:     global_buffer
    .group_segment_fixed_size: 0
    .kernarg_segment_align: 8
    .kernarg_segment_size: 104
    .language:       OpenCL C
    .language_version:
      - 2
      - 0
    .max_flat_workgroup_size: 182
    .name:           fft_rtc_fwd_len1820_factors_10_13_7_2_wgs_182_tpt_182_halfLds_dp_op_CI_CI_unitstride_sbrr_R2C_dirReg
    .private_segment_fixed_size: 36
    .sgpr_count:     38
    .sgpr_spill_count: 0
    .symbol:         fft_rtc_fwd_len1820_factors_10_13_7_2_wgs_182_tpt_182_halfLds_dp_op_CI_CI_unitstride_sbrr_R2C_dirReg.kd
    .uniform_work_group_size: 1
    .uses_dynamic_stack: false
    .vgpr_count:     256
    .vgpr_spill_count: 8
    .wavefront_size: 32
    .workgroup_processor_mode: 1
amdhsa.target:   amdgcn-amd-amdhsa--gfx1100
amdhsa.version:
  - 1
  - 2
...

	.end_amdgpu_metadata
